;; amdgpu-corpus repo=zjin-lcf/HeCBench kind=compiled arch=gfx1100 opt=O3
	.text
	.amdgcn_target "amdgcn-amd-amdhsa--gfx1100"
	.amdhsa_code_object_version 6
	.section	.text._Z6kalmanILi8EEvPKdiS1_S1_S1_S1_S1_bS1_iPdS2_S2_iiS2_bS2_,"axG",@progbits,_Z6kalmanILi8EEvPKdiS1_S1_S1_S1_S1_bS1_iPdS2_S2_iiS2_bS2_,comdat
	.protected	_Z6kalmanILi8EEvPKdiS1_S1_S1_S1_S1_bS1_iPdS2_S2_iiS2_bS2_ ; -- Begin function _Z6kalmanILi8EEvPKdiS1_S1_S1_S1_S1_bS1_iPdS2_S2_iiS2_bS2_
	.globl	_Z6kalmanILi8EEvPKdiS1_S1_S1_S1_S1_bS1_iPdS2_S2_iiS2_bS2_
	.p2align	8
	.type	_Z6kalmanILi8EEvPKdiS1_S1_S1_S1_S1_bS1_iPdS2_S2_iiS2_bS2_,@function
_Z6kalmanILi8EEvPKdiS1_S1_S1_S1_S1_bS1_iPdS2_S2_iiS2_bS2_: ; @_Z6kalmanILi8EEvPKdiS1_S1_S1_S1_S1_bS1_iPdS2_S2_iiS2_bS2_
; %bb.0:
	s_clause 0x1
	s_load_b32 s2, s[0:1], 0x94
	s_load_b32 s3, s[0:1], 0x48
	s_waitcnt lgkmcnt(0)
	s_and_b32 s2, s2, 0xffff
	s_delay_alu instid0(SALU_CYCLE_1) | instskip(SKIP_1) | instid1(VALU_DEP_1)
	v_mad_u64_u32 v[10:11], null, s15, s2, v[0:1]
	s_mov_b32 s2, exec_lo
	v_cmpx_gt_i32_e64 s3, v10
	s_cbranch_execz .LBB0_53
; %bb.1:
	s_load_b256 s[20:27], s[0:1], 0x10
	v_dual_mov_b32 v59, v10 :: v_dual_lshlrev_b32 v0, 6, v10
	s_clause 0x1
	s_load_b64 s[28:29], s[0:1], 0x30
	s_load_b64 s[2:3], s[0:1], 0x68
	s_mov_b32 s4, 0
	v_ashrrev_i32_e32 v1, 31, v0
	s_mov_b32 s5, s4
	s_mov_b32 s6, s4
	;; [unrolled: 1-line block ×4, first 2 shown]
	v_lshlrev_b64 v[0:1], 3, v[0:1]
	s_mov_b32 s9, s4
	s_mov_b32 s10, s4
	;; [unrolled: 1-line block ×8, first 2 shown]
	s_waitcnt lgkmcnt(0)
	v_add_co_u32 v2, vcc_lo, s24, v0
	v_add_co_ci_u32_e32 v3, vcc_lo, s25, v1, vcc_lo
	s_mov_b32 s17, s4
	s_mov_b32 s18, s4
	;; [unrolled: 1-line block ×3, first 2 shown]
	global_load_b128 v[6:9], v[2:3], off offset:48
	v_add_co_u32 v4, vcc_lo, s20, v0
	v_add_co_ci_u32_e32 v5, vcc_lo, s21, v1, vcc_lo
	v_add_co_u32 v0, vcc_lo, s26, v0
	v_add_co_ci_u32_e32 v1, vcc_lo, s27, v1, vcc_lo
	s_cmp_gt_i32 s2, 0
	s_cselect_b32 s20, -1, 0
	s_cmp_lt_i32 s2, 1
	s_waitcnt vmcnt(0)
	scratch_store_b128 off, v[6:9], off offset:1704 ; 16-byte Folded Spill
	global_load_b128 v[6:9], v[2:3], off offset:32
	s_waitcnt vmcnt(0)
	scratch_store_b128 off, v[6:9], off offset:1720 ; 16-byte Folded Spill
	global_load_b128 v[6:9], v[2:3], off offset:16
	s_waitcnt vmcnt(0)
	scratch_store_b128 off, v[6:9], off offset:1736 ; 16-byte Folded Spill
	global_load_b128 v[6:9], v[2:3], off
	s_waitcnt vmcnt(0)
	scratch_store_b128 off, v[6:9], off offset:1752 ; 16-byte Folded Spill
	global_load_b128 v[6:9], v[2:3], off offset:112
	s_waitcnt vmcnt(0)
	scratch_store_b128 off, v[6:9], off offset:1768 ; 16-byte Folded Spill
	global_load_b128 v[6:9], v[2:3], off offset:96
	;; [unrolled: 3-line block ×16, first 2 shown]
	s_waitcnt vmcnt(0)
	scratch_store_b128 off, v[6:9], off offset:2008 ; 16-byte Folded Spill
	v_lshlrev_b32_e32 v6, 3, v10
	s_delay_alu instid0(VALU_DEP_1) | instskip(NEXT) | instid1(VALU_DEP_1)
	v_ashrrev_i32_e32 v7, 31, v6
	v_lshlrev_b64 v[30:31], 3, v[6:7]
	global_load_b128 v[6:9], v[2:3], off offset:368
	s_waitcnt vmcnt(0)
	scratch_store_b128 off, v[6:9], off offset:2024 ; 16-byte Folded Spill
	global_load_b128 v[6:9], v[2:3], off offset:352
	s_waitcnt vmcnt(0)
	scratch_store_b128 off, v[6:9], off offset:2040 ; 16-byte Folded Spill
	;; [unrolled: 3-line block ×15, first 2 shown]
	global_load_b128 v[6:9], v[4:5], off
	s_waitcnt vmcnt(0)
	scratch_store_b128 off, v[6:9], off offset:336 ; 16-byte Folded Spill
	global_load_b128 v[6:9], v[4:5], off offset:112
	s_waitcnt vmcnt(0)
	scratch_store_b128 off, v[6:9], off offset:48 ; 16-byte Folded Spill
	s_clause 0x1
	global_load_b128 v[106:109], v[4:5], off offset:96
	global_load_b128 v[6:9], v[4:5], off offset:80
	s_waitcnt vmcnt(0)
	scratch_store_b128 off, v[6:9], off offset:32 ; 16-byte Folded Spill
	global_load_b128 v[6:9], v[4:5], off offset:64
	s_waitcnt vmcnt(0)
	scratch_store_b128 off, v[6:9], off offset:112 ; 16-byte Folded Spill
	s_clause 0x1
	global_load_b128 v[144:147], v[4:5], off offset:176
	global_load_b128 v[6:9], v[4:5], off offset:160
	s_waitcnt vmcnt(0)
	scratch_store_b128 off, v[6:9], off offset:208 ; 16-byte Folded Spill
	global_load_b128 v[6:9], v[4:5], off offset:144
	s_waitcnt vmcnt(0)
	scratch_store_b128 off, v[6:9], off offset:96 ; 16-byte Folded Spill
	;; [unrolled: 3-line block ×6, first 2 shown]
	s_clause 0x3
	global_load_b128 v[8:11], v[4:5], off offset:192
	global_load_b128 v[12:15], v[4:5], off offset:304
	global_load_b128 v[20:23], v[4:5], off offset:288
	global_load_b128 v[24:27], v[4:5], off offset:272
	s_waitcnt vmcnt(0)
	scratch_store_b128 off, v[24:27], off offset:688 ; 16-byte Folded Spill
	global_load_b128 v[24:27], v[4:5], off offset:256
	s_waitcnt vmcnt(0)
	scratch_store_b128 off, v[24:27], off offset:352 ; 16-byte Folded Spill
	global_load_b128 v[24:27], v[4:5], off offset:368
	;; [unrolled: 3-line block ×3, first 2 shown]
	s_waitcnt vmcnt(0)
	scratch_store_b128 off, v[24:27], off offset:768 ; 16-byte Folded Spill
	s_clause 0x2
	global_load_b128 v[24:27], v[4:5], off offset:336
	global_load_b128 v[35:38], v[4:5], off offset:320
	global_load_b128 v[39:42], v[4:5], off offset:432
	s_waitcnt vmcnt(0)
	scratch_store_b128 off, v[39:42], off offset:384 ; 16-byte Folded Spill
	global_load_b128 v[39:42], v[4:5], off offset:416
	s_waitcnt vmcnt(0)
	scratch_store_b128 off, v[39:42], off offset:304 ; 16-byte Folded Spill
	global_load_b128 v[39:42], v[4:5], off offset:400
	;; [unrolled: 3-line block ×4, first 2 shown]
	s_waitcnt vmcnt(0)
	scratch_store_b128 off, v[39:42], off offset:704 ; 16-byte Folded Spill
	s_clause 0x2
	global_load_b128 v[39:42], v[4:5], off offset:480
	global_load_b128 v[43:46], v[4:5], off offset:464
	;; [unrolled: 1-line block ×3, first 2 shown]
	s_waitcnt vmcnt(1)
	scratch_store_b128 off, v[43:46], off offset:432 ; 16-byte Folded Spill
	s_waitcnt vmcnt(0)
	scratch_store_b128 off, v[2:5], off offset:448 ; 16-byte Folded Spill
	s_clause 0x8
	global_load_b128 v[74:77], v[0:1], off offset:48
	global_load_b128 v[164:167], v[0:1], off offset:32
	;; [unrolled: 1-line block ×3, first 2 shown]
	global_load_b128 v[140:143], v[0:1], off
	global_load_b128 v[70:73], v[0:1], off offset:112
	global_load_b128 v[88:91], v[0:1], off offset:96
	;; [unrolled: 1-line block ×5, first 2 shown]
	v_dual_mov_b32 v58, s19 :: v_dual_mov_b32 v55, s16
	v_dual_mov_b32 v57, s18 :: v_dual_mov_b32 v56, s17
	v_dual_mov_b32 v53, s14 :: v_dual_mov_b32 v54, s15
	v_dual_mov_b32 v51, s12 :: v_dual_mov_b32 v52, s13
	v_dual_mov_b32 v49, s10 :: v_dual_mov_b32 v50, s11
	v_dual_mov_b32 v47, s8 :: v_dual_mov_b32 v48, s9
	v_dual_mov_b32 v45, s6 :: v_dual_mov_b32 v46, s7
	v_dual_mov_b32 v43, s4 :: v_dual_mov_b32 v44, s5
	s_waitcnt vmcnt(0)
	scratch_store_b128 off, v[2:5], off offset:272 ; 16-byte Folded Spill
	s_clause 0x3
	global_load_b128 v[98:101], v[0:1], off offset:160
	global_load_b128 v[116:119], v[0:1], off offset:144
	;; [unrolled: 1-line block ×4, first 2 shown]
	s_waitcnt vmcnt(0)
	scratch_store_b128 off, v[2:5], off offset:720 ; 16-byte Folded Spill
	s_clause 0x1
	global_load_b128 v[64:67], v[0:1], off offset:224
	global_load_b128 v[2:5], v[0:1], off offset:208
	s_waitcnt vmcnt(0)
	scratch_store_b128 off, v[2:5], off offset:640 ; 16-byte Folded Spill
	s_clause 0x8
	global_load_b128 v[128:131], v[0:1], off offset:192
	global_load_b128 v[160:163], v[0:1], off offset:304
	global_load_b128 v[188:191], v[0:1], off offset:288
	global_load_b128 v[124:127], v[0:1], off offset:272
	global_load_b128 v[84:87], v[0:1], off offset:256
	global_load_b128 v[148:151], v[0:1], off offset:368
	global_load_b128 v[168:171], v[0:1], off offset:352
	global_load_b128 v[60:63], v[0:1], off offset:336
	global_load_b128 v[2:5], v[0:1], off offset:320
	s_waitcnt vmcnt(0)
	scratch_store_b128 off, v[2:5], off offset:288 ; 16-byte Folded Spill
	s_clause 0x2
	global_load_b128 v[16:19], v[0:1], off offset:432
	global_load_b128 v[176:179], v[0:1], off offset:416
	;; [unrolled: 1-line block ×3, first 2 shown]
	s_waitcnt vmcnt(0)
	scratch_store_b128 off, v[2:5], off offset:1104 ; 16-byte Folded Spill
	s_clause 0x1
	global_load_b128 v[152:155], v[0:1], off offset:384
	global_load_b128 v[2:5], v[0:1], off offset:496
	s_waitcnt vmcnt(0)
	scratch_store_b128 off, v[2:5], off offset:752 ; 16-byte Folded Spill
	s_clause 0x2
	global_load_b128 v[172:175], v[0:1], off offset:480
	global_load_b128 v[180:183], v[0:1], off offset:464
	global_load_b128 v[184:187], v[0:1], off offset:448
	s_clause 0x3
	scratch_store_b128 off, v[43:46], off offset:544
	scratch_store_b128 off, v[47:50], off offset:560
	;; [unrolled: 1-line block ×4, first 2 shown]
	s_cbranch_scc1 .LBB0_3
; %bb.2:
	v_add_co_u32 v0, vcc_lo, s22, v30
	v_add_co_ci_u32_e32 v1, vcc_lo, s23, v31, vcc_lo
	v_mov_b32_e32 v45, 0
	global_load_b64 v[43:44], v[0:1], off
	v_mov_b32_e32 v46, v45
	v_mov_b32_e32 v47, v45
	;; [unrolled: 1-line block ×13, first 2 shown]
	s_waitcnt vmcnt(0)
	s_clause 0x3
	scratch_store_b128 off, v[43:46], off offset:544
	scratch_store_b128 off, v[47:50], off offset:560
	;; [unrolled: 1-line block ×4, first 2 shown]
.LBB0_3:
	v_add_co_u32 v32, vcc_lo, s28, v30
	v_add_co_ci_u32_e32 v33, vcc_lo, s29, v31, vcc_lo
	v_cndmask_b32_e64 v34, 0, 1, s20
	s_and_not1_b32 vcc_lo, exec_lo, s20
	scratch_store_b128 off, v[70:73], off offset:608 ; 16-byte Folded Spill
	global_load_b64 v[68:69], v[32:33], off
	s_cbranch_vccnz .LBB0_5
; %bb.4:
	v_add_co_u32 v2, vcc_lo, s22, v30
	v_add_co_ci_u32_e32 v3, vcc_lo, s23, v31, vcc_lo
	s_clause 0x3
	scratch_load_b128 v[43:46], off, off offset:544
	scratch_load_b128 v[47:50], off, off offset:560
	;; [unrolled: 1-line block ×4, first 2 shown]
	global_load_b64 v[45:46], v[2:3], off offset:8
	s_waitcnt vmcnt(0)
	s_clause 0x3
	scratch_store_b128 off, v[43:46], off offset:544
	scratch_store_b128 off, v[47:50], off offset:560
	;; [unrolled: 1-line block ×4, first 2 shown]
.LBB0_5:
	global_load_b64 v[70:71], v[32:33], off offset:8
	v_cmp_ne_u32_e32 vcc_lo, 1, v34
	s_cbranch_vccnz .LBB0_7
; %bb.6:
	v_add_co_u32 v4, vcc_lo, s22, v30
	v_add_co_ci_u32_e32 v5, vcc_lo, s23, v31, vcc_lo
	s_clause 0x3
	scratch_load_b128 v[43:46], off, off offset:544
	scratch_load_b128 v[47:50], off, off offset:560
	;; [unrolled: 1-line block ×4, first 2 shown]
	global_load_b64 v[47:48], v[4:5], off offset:16
	s_waitcnt vmcnt(0)
	s_clause 0x3
	scratch_store_b128 off, v[43:46], off offset:544
	scratch_store_b128 off, v[47:50], off offset:560
	;; [unrolled: 1-line block ×4, first 2 shown]
.LBB0_7:
	global_load_b64 v[72:73], v[32:33], off offset:16
	v_cmp_ne_u32_e32 vcc_lo, 1, v34
	scratch_store_b128 off, v[74:77], off offset:624 ; 16-byte Folded Spill
	s_cbranch_vccnz .LBB0_9
; %bb.8:
	v_add_co_u32 v6, vcc_lo, s22, v30
	v_add_co_ci_u32_e32 v7, vcc_lo, s23, v31, vcc_lo
	s_clause 0x3
	scratch_load_b128 v[43:46], off, off offset:544
	scratch_load_b128 v[47:50], off, off offset:560
	;; [unrolled: 1-line block ×4, first 2 shown]
	global_load_b64 v[49:50], v[6:7], off offset:24
	s_waitcnt vmcnt(0)
	s_clause 0x3
	scratch_store_b128 off, v[43:46], off offset:544
	scratch_store_b128 off, v[47:50], off offset:560
	;; [unrolled: 1-line block ×4, first 2 shown]
.LBB0_9:
	global_load_b64 v[74:75], v[32:33], off offset:24
	v_cmp_ne_u32_e32 vcc_lo, 1, v34
	v_dual_mov_b32 v0, v8 :: v_dual_mov_b32 v1, v9
	v_dual_mov_b32 v2, v10 :: v_dual_mov_b32 v3, v11
	s_cbranch_vccnz .LBB0_11
; %bb.10:
	v_add_co_u32 v8, vcc_lo, s22, v30
	v_add_co_ci_u32_e32 v9, vcc_lo, s23, v31, vcc_lo
	s_clause 0x3
	scratch_load_b128 v[43:46], off, off offset:544
	scratch_load_b128 v[47:50], off, off offset:560
	;; [unrolled: 1-line block ×4, first 2 shown]
	global_load_b64 v[51:52], v[8:9], off offset:32
	s_waitcnt vmcnt(0)
	s_clause 0x3
	scratch_store_b128 off, v[43:46], off offset:544
	scratch_store_b128 off, v[47:50], off offset:560
	;; [unrolled: 1-line block ×4, first 2 shown]
.LBB0_11:
	global_load_b64 v[76:77], v[32:33], off offset:32
	v_cmp_ne_u32_e32 vcc_lo, 1, v34
	s_cbranch_vccnz .LBB0_13
; %bb.12:
	v_add_co_u32 v10, vcc_lo, s22, v30
	v_add_co_ci_u32_e32 v11, vcc_lo, s23, v31, vcc_lo
	s_clause 0x3
	scratch_load_b128 v[43:46], off, off offset:544
	scratch_load_b128 v[47:50], off, off offset:560
	;; [unrolled: 1-line block ×4, first 2 shown]
	global_load_b64 v[53:54], v[10:11], off offset:40
	s_waitcnt vmcnt(0)
	s_clause 0x3
	scratch_store_b128 off, v[43:46], off offset:544
	scratch_store_b128 off, v[47:50], off offset:560
	;; [unrolled: 1-line block ×4, first 2 shown]
.LBB0_13:
	global_load_b64 v[78:79], v[32:33], off offset:40
	v_cmp_ne_u32_e32 vcc_lo, 1, v34
	v_dual_mov_b32 v4, v12 :: v_dual_mov_b32 v5, v13
	v_dual_mov_b32 v6, v14 :: v_dual_mov_b32 v7, v15
	s_cbranch_vccnz .LBB0_15
; %bb.14:
	v_add_co_u32 v12, vcc_lo, s22, v30
	v_add_co_ci_u32_e32 v13, vcc_lo, s23, v31, vcc_lo
	s_clause 0x3
	scratch_load_b128 v[43:46], off, off offset:544
	scratch_load_b128 v[47:50], off, off offset:560
	;; [unrolled: 1-line block ×4, first 2 shown]
	global_load_b64 v[55:56], v[12:13], off offset:48
	s_waitcnt vmcnt(0)
	s_clause 0x3
	scratch_store_b128 off, v[43:46], off offset:544
	scratch_store_b128 off, v[47:50], off offset:560
	;; [unrolled: 1-line block ×4, first 2 shown]
.LBB0_15:
	global_load_b64 v[80:81], v[32:33], off offset:48
	v_cmp_ne_u32_e32 vcc_lo, 1, v34
	scratch_store_b128 off, v[4:7], off offset:80 ; 16-byte Folded Spill
	s_cbranch_vccnz .LBB0_17
; %bb.16:
	v_add_co_u32 v14, vcc_lo, s22, v30
	v_add_co_ci_u32_e32 v15, vcc_lo, s23, v31, vcc_lo
	s_clause 0x3
	scratch_load_b128 v[43:46], off, off offset:544
	scratch_load_b128 v[47:50], off, off offset:560
	;; [unrolled: 1-line block ×4, first 2 shown]
	global_load_b64 v[57:58], v[14:15], off offset:56
	s_waitcnt vmcnt(0)
	s_clause 0x3
	scratch_store_b128 off, v[43:46], off offset:544
	scratch_store_b128 off, v[47:50], off offset:560
	;; [unrolled: 1-line block ×4, first 2 shown]
.LBB0_17:
	v_mov_b32_e32 v4, 0
	v_dual_mov_b32 v6, v59 :: v_dual_mov_b32 v5, 0
	v_dual_mov_b32 v9, v20 :: v_dual_mov_b32 v10, v21
	s_clause 0x1
	scratch_load_b128 v[94:97], off, off offset:208
	scratch_load_b128 v[156:159], off, off offset:304
	v_dual_mov_b32 v11, v22 :: v_dual_mov_b32 v12, v23
	v_dual_mov_b32 v20, v60 :: v_dual_mov_b32 v21, v61
	scratch_load_b128 v[50:53], off, off offset:288 ; 16-byte Folded Reload
	global_load_b64 v[82:83], v[32:33], off offset:56
	s_clause 0x1
	scratch_store_b64 off, v[4:5], off offset:2216
	scratch_store_b64 off, v[4:5], off offset:1456
	v_dual_mov_b32 v22, v62 :: v_dual_mov_b32 v23, v63
	scratch_load_b128 v[60:63], off, off offset:720 ; 16-byte Folded Reload
	s_load_b32 s4, s[0:1], 0x38
	v_ashrrev_i32_e32 v7, 31, v6
	v_dual_mov_b32 v46, v124 :: v_dual_mov_b32 v47, v125
	v_dual_mov_b32 v48, v126 :: v_dual_mov_b32 v49, v127
	s_delay_alu instid0(VALU_DEP_3)
	v_lshlrev_b64 v[7:8], 3, v[6:7]
	v_dual_mov_b32 v127, v19 :: v_dual_mov_b32 v126, v18
	v_dual_mov_b32 v125, v17 :: v_dual_mov_b32 v124, v16
	s_waitcnt lgkmcnt(0)
	s_bitcmp0_b32 s4, 0
	s_cbranch_scc1 .LBB0_19
; %bb.18:
	s_load_b64 s[4:5], s[0:1], 0x40
	s_waitcnt lgkmcnt(0)
	v_add_co_u32 v32, vcc_lo, s4, v7
	v_add_co_ci_u32_e32 v33, vcc_lo, s5, v8, vcc_lo
	global_load_b64 v[4:5], v[32:33], off
	s_waitcnt vmcnt(0)
	scratch_store_b64 off, v[4:5], off offset:1456 ; 8-byte Folded Spill
.LBB0_19:
	s_clause 0x2
	s_load_b32 s28, s[0:1], 0x8
	s_load_b64 s[8:9], s[0:1], 0x70
	s_load_b64 s[10:11], s[0:1], 0x60
	s_clause 0x8
	scratch_store_b128 off, v[106:109], off
	scratch_store_b128 off, v[24:27], off offset:784
	scratch_store_b128 off, v[35:38], off offset:800
	;; [unrolled: 1-line block ×7, first 2 shown]
	scratch_store_b64 off, v[6:7], off offset:2232
	s_waitcnt lgkmcnt(0)
	s_cmp_lt_i32 s28, 1
	s_cbranch_scc1 .LBB0_38
; %bb.20:
	v_mov_b32_e32 v0, 0
	v_dual_mov_b32 v1, 0 :: v_dual_mov_b32 v2, 0
	s_clause 0x1
	s_load_b64 s[12:13], s[0:1], 0x0
	s_load_b128 s[4:7], s[0:1], 0x50
	v_mul_lo_u32 v32, v6, s28
	s_clause 0x2
	scratch_store_b64 off, v[0:1], off offset:2216
	scratch_store_b64 off, v[2:3], off offset:2224
	;; [unrolled: 1-line block ×3, first 2 shown]
	s_clause 0x2
	scratch_load_b128 v[56:59], off, off offset:1104
	scratch_load_b128 v[188:191], off, off offset:272
	;; [unrolled: 1-line block ×3, first 2 shown]
	s_cmp_lg_u32 s2, 0
	s_mov_b32 s14, 0xd7f4df2e
	s_mov_b32 s16, 0x16291751
	v_ashrrev_i32_e32 v33, 31, v32
	s_mov_b32 s18, 0x9b27acf1
	s_mov_b32 s20, 0x998ef7b6
	;; [unrolled: 1-line block ×4, first 2 shown]
	v_lshlrev_b64 v[32:33], 3, v[32:33]
	s_mov_b32 s29, 0
	s_mov_b32 s15, 0x3fc7474d
	;; [unrolled: 1-line block ×5, first 2 shown]
	s_waitcnt lgkmcnt(0)
	v_add_co_u32 v0, vcc_lo, s12, v32
	v_add_co_ci_u32_e32 v1, vcc_lo, s13, v33, vcc_lo
	v_add_co_u32 v16, vcc_lo, s4, v32
	v_add_co_ci_u32_e32 v17, vcc_lo, s5, v33, vcc_lo
	;; [unrolled: 2-line block ×3, first 2 shown]
	s_mov_b32 s4, 0x55555555
	s_mov_b32 s6, 0x6b47b09a
	;; [unrolled: 1-line block ×8, first 2 shown]
	s_cselect_b32 s30, -1, 0
	s_mov_b32 s26, 0x55555780
	s_lshl_b32 s31, s2, 1
	global_load_b64 v[32:33], v[0:1], off
	s_and_not1_b32 vcc_lo, exec_lo, s30
	scratch_store_b64 off, v[0:1], off offset:1464 ; 8-byte Folded Spill
	s_cbranch_vccnz .LBB0_29
.LBB0_21:
	s_clause 0x3
	scratch_load_b128 v[0:3], off, off offset:544
	scratch_load_b128 v[4:7], off, off offset:560
	;; [unrolled: 1-line block ×4, first 2 shown]
	s_waitcnt vmcnt(3)
	v_fma_f64 v[34:35], -v[68:69], v[0:1], v[32:33]
	s_delay_alu instid0(VALU_DEP_1) | instskip(SKIP_1) | instid1(VALU_DEP_1)
	v_fma_f64 v[34:35], -v[70:71], v[2:3], v[34:35]
	s_waitcnt vmcnt(2)
	v_fma_f64 v[34:35], -v[72:73], v[4:5], v[34:35]
	s_delay_alu instid0(VALU_DEP_1) | instskip(SKIP_1) | instid1(VALU_DEP_1)
	v_fma_f64 v[34:35], -v[74:75], v[6:7], v[34:35]
	;; [unrolled: 4-line block ×3, first 2 shown]
	s_waitcnt vmcnt(0)
	v_fma_f64 v[34:35], -v[80:81], v[12:13], v[34:35]
	s_delay_alu instid0(VALU_DEP_1)
	v_fma_f64 v[38:39], -v[82:83], v[14:15], v[34:35]
	s_cbranch_execnz .LBB0_23
.LBB0_22:
	s_waitcnt vmcnt(0)
	v_add_f64 v[38:39], v[32:33], -v[68:69]
.LBB0_23:
	s_waitcnt vmcnt(7)
	v_dual_mov_b32 v3, v140 :: v_dual_mov_b32 v4, v141
	s_and_not1_b32 vcc_lo, exec_lo, s30
	global_store_b64 v[16:17], v[38:39], off
	s_cbranch_vccnz .LBB0_25
; %bb.24:
	s_clause 0x5
	scratch_load_b128 v[0:3], off, off offset:544
	scratch_load_b128 v[4:7], off, off offset:560
	;; [unrolled: 1-line block ×6, first 2 shown]
	s_waitcnt vmcnt(5)
	v_mul_f64 v[32:33], v[0:1], v[140:141]
	v_mul_f64 v[34:35], v[0:1], v[136:137]
	s_delay_alu instid0(VALU_DEP_2) | instskip(NEXT) | instid1(VALU_DEP_1)
	v_fma_f64 v[32:33], v[0:1], v[32:33], 0
	v_fma_f64 v[32:33], v[2:3], v[34:35], v[32:33]
	v_mul_f64 v[34:35], v[0:1], v[132:133]
	s_waitcnt vmcnt(4)
	s_delay_alu instid0(VALU_DEP_1) | instskip(SKIP_1) | instid1(VALU_DEP_1)
	v_fma_f64 v[32:33], v[4:5], v[34:35], v[32:33]
	v_mul_f64 v[34:35], v[0:1], v[128:129]
	v_fma_f64 v[32:33], v[6:7], v[34:35], v[32:33]
	v_mul_f64 v[34:35], v[0:1], v[84:85]
	s_waitcnt vmcnt(3)
	s_delay_alu instid0(VALU_DEP_1) | instskip(SKIP_1) | instid1(VALU_DEP_1)
	v_fma_f64 v[32:33], v[8:9], v[34:35], v[32:33]
	v_mul_f64 v[34:35], v[0:1], v[50:51]
	;; [unrolled: 6-line block ×3, first 2 shown]
	v_fma_f64 v[32:33], v[14:15], v[34:35], v[32:33]
	v_mul_f64 v[34:35], v[2:3], v[142:143]
	s_delay_alu instid0(VALU_DEP_1) | instskip(SKIP_1) | instid1(VALU_DEP_1)
	v_fma_f64 v[32:33], v[0:1], v[34:35], v[32:33]
	v_mul_f64 v[34:35], v[2:3], v[138:139]
	v_fma_f64 v[32:33], v[2:3], v[34:35], v[32:33]
	v_mul_f64 v[34:35], v[2:3], v[134:135]
	s_delay_alu instid0(VALU_DEP_1) | instskip(SKIP_1) | instid1(VALU_DEP_1)
	v_fma_f64 v[32:33], v[4:5], v[34:35], v[32:33]
	v_mul_f64 v[34:35], v[2:3], v[130:131]
	;; [unrolled: 5-line block ×5, first 2 shown]
	v_fma_f64 v[32:33], v[2:3], v[34:35], v[32:33]
	v_mul_f64 v[34:35], v[4:5], v[116:117]
	s_delay_alu instid0(VALU_DEP_1) | instskip(SKIP_2) | instid1(VALU_DEP_1)
	v_fma_f64 v[32:33], v[4:5], v[34:35], v[32:33]
	s_waitcnt vmcnt(1)
	v_mul_f64 v[34:35], v[4:5], v[24:25]
	v_fma_f64 v[32:33], v[6:7], v[34:35], v[32:33]
	v_mul_f64 v[34:35], v[4:5], v[46:47]
	s_delay_alu instid0(VALU_DEP_1) | instskip(SKIP_1) | instid1(VALU_DEP_1)
	v_fma_f64 v[32:33], v[8:9], v[34:35], v[32:33]
	v_mul_f64 v[34:35], v[4:5], v[20:21]
	v_fma_f64 v[32:33], v[10:11], v[34:35], v[32:33]
	v_mul_f64 v[34:35], v[4:5], v[56:57]
	s_delay_alu instid0(VALU_DEP_1) | instskip(SKIP_1) | instid1(VALU_DEP_1)
	v_fma_f64 v[32:33], v[12:13], v[34:35], v[32:33]
	;; [unrolled: 5-line block ×8, first 2 shown]
	v_mul_f64 v[34:35], v[8:9], v[64:65]
	v_fma_f64 v[32:33], v[6:7], v[34:35], v[32:33]
	s_waitcnt vmcnt(0)
	v_mul_f64 v[34:35], v[8:9], v[28:29]
	s_delay_alu instid0(VALU_DEP_1) | instskip(SKIP_1) | instid1(VALU_DEP_1)
	v_fma_f64 v[32:33], v[8:9], v[34:35], v[32:33]
	v_mul_f64 v[34:35], v[8:9], v[168:169]
	v_fma_f64 v[32:33], v[10:11], v[34:35], v[32:33]
	v_mul_f64 v[34:35], v[8:9], v[176:177]
	s_delay_alu instid0(VALU_DEP_1) | instskip(SKIP_1) | instid1(VALU_DEP_1)
	v_fma_f64 v[32:33], v[12:13], v[34:35], v[32:33]
	v_mul_f64 v[34:35], v[8:9], v[172:173]
	v_fma_f64 v[32:33], v[14:15], v[34:35], v[32:33]
	v_mul_f64 v[34:35], v[10:11], v[166:167]
	s_delay_alu instid0(VALU_DEP_1) | instskip(SKIP_1) | instid1(VALU_DEP_1)
	v_fma_f64 v[32:33], v[0:1], v[34:35], v[32:33]
	v_mul_f64 v[34:35], v[10:11], v[90:91]
	v_fma_f64 v[32:33], v[2:3], v[34:35], v[32:33]
	v_mul_f64 v[34:35], v[10:11], v[100:101]
	s_delay_alu instid0(VALU_DEP_1) | instskip(SKIP_1) | instid1(VALU_DEP_1)
	v_fma_f64 v[32:33], v[4:5], v[34:35], v[32:33]
	v_mul_f64 v[34:35], v[10:11], v[66:67]
	v_fma_f64 v[32:33], v[6:7], v[34:35], v[32:33]
	v_mul_f64 v[34:35], v[10:11], v[30:31]
	scratch_load_b128 v[28:31], off, off offset:608 ; 16-byte Folded Reload
	v_fma_f64 v[32:33], v[8:9], v[34:35], v[32:33]
	v_mul_f64 v[34:35], v[10:11], v[170:171]
	s_delay_alu instid0(VALU_DEP_1) | instskip(SKIP_1) | instid1(VALU_DEP_1)
	v_fma_f64 v[32:33], v[10:11], v[34:35], v[32:33]
	v_mul_f64 v[34:35], v[10:11], v[178:179]
	v_fma_f64 v[32:33], v[12:13], v[34:35], v[32:33]
	v_mul_f64 v[34:35], v[10:11], v[174:175]
	s_delay_alu instid0(VALU_DEP_1) | instskip(SKIP_3) | instid1(VALU_DEP_1)
	v_fma_f64 v[32:33], v[14:15], v[34:35], v[32:33]
	scratch_load_b128 v[34:37], off, off offset:624 ; 16-byte Folded Reload
	s_waitcnt vmcnt(0)
	v_mul_f64 v[34:35], v[12:13], v[34:35]
	v_fma_f64 v[32:33], v[0:1], v[34:35], v[32:33]
	v_mul_f64 v[34:35], v[12:13], v[28:29]
	s_delay_alu instid0(VALU_DEP_1) | instskip(SKIP_1) | instid1(VALU_DEP_1)
	v_fma_f64 v[32:33], v[2:3], v[34:35], v[32:33]
	v_mul_f64 v[34:35], v[12:13], v[188:189]
	v_fma_f64 v[32:33], v[4:5], v[34:35], v[32:33]
	v_mul_f64 v[34:35], v[12:13], v[60:61]
	s_delay_alu instid0(VALU_DEP_1) | instskip(SKIP_1) | instid1(VALU_DEP_1)
	v_fma_f64 v[32:33], v[6:7], v[34:35], v[32:33]
	;; [unrolled: 5-line block ×7, first 2 shown]
	v_mul_f64 v[34:35], v[14:15], v[126:127]
	v_fma_f64 v[32:33], v[12:13], v[34:35], v[32:33]
	v_mul_f64 v[34:35], v[14:15], v[42:43]
	s_delay_alu instid0(VALU_DEP_1)
	v_fma_f64 v[3:4], v[14:15], v[34:35], v[32:33]
.LBB0_25:
	v_dual_mov_b32 v5, v164 :: v_dual_mov_b32 v6, v165
	v_mov_b32_e32 v103, v101
	v_dual_mov_b32 v7, v166 :: v_dual_mov_b32 v8, v167
	v_dual_mov_b32 v102, v100 :: v_dual_mov_b32 v101, v99
	v_mov_b32_e32 v100, v98
	s_cmp_lt_i32 s29, s2
	s_clause 0x1
	scratch_store_b128 off, v[46:49], off offset:816
	scratch_store_b128 off, v[20:23], off offset:512
	global_store_b64 v[18:19], v[3:4], off
	s_waitcnt vmcnt(1)
	s_clause 0x17
	scratch_store_b128 off, v[68:71], off offset:144
	scratch_store_b128 off, v[72:75], off offset:160
	;; [unrolled: 1-line block ×4, first 2 shown]
	scratch_store_b64 off, v[16:17], off offset:1472
	scratch_store_b64 off, v[18:19], off offset:1480
	scratch_store_b128 off, v[40:43], off offset:752
	scratch_store_b128 off, v[124:127], off offset:1120
	;; [unrolled: 1-line block ×16, first 2 shown]
	scratch_store_b64 off, v[38:39], off offset:1536
	scratch_store_b64 off, v[3:4], off offset:1184
	s_cbranch_scc1 .LBB0_27
; %bb.26:
	scratch_load_b64 v[0:1], off, off offset:2224 ; 8-byte Folded Reload
	s_waitcnt vmcnt(1)
	v_frexp_mant_f64_e32 v[32:33], v[3:4]
	v_frexp_exp_i32_f64_e32 v34, v[3:4]
	s_mov_b32 s27, s5
	s_delay_alu instid0(VALU_DEP_2) | instskip(SKIP_1) | instid1(VALU_DEP_3)
	v_cmp_gt_f64_e32 vcc_lo, s[4:5], v[32:33]
	v_cndmask_b32_e64 v2, 0x3ff00000, 2.0, vcc_lo
	v_subrev_co_ci_u32_e32 v144, vcc_lo, 0, v34, vcc_lo
	v_cmp_class_f64_e64 vcc_lo, v[3:4], 0x204
	s_waitcnt vmcnt(0)
	v_mov_b32_e32 v1, v0
	s_delay_alu instid0(VALU_DEP_1) | instskip(NEXT) | instid1(VALU_DEP_1)
	v_mul_f64 v[32:33], v[32:33], v[1:2]
	v_add_f64 v[36:37], v[32:33], 1.0
	v_add_f64 v[34:35], v[32:33], -1.0
	s_delay_alu instid0(VALU_DEP_2) | instskip(NEXT) | instid1(VALU_DEP_1)
	v_add_f64 v[38:39], v[36:37], -1.0
	v_add_f64 v[32:33], v[32:33], -v[38:39]
	v_rcp_f64_e32 v[38:39], v[36:37]
	s_waitcnt_depctr 0xfff
	v_fma_f64 v[40:41], -v[36:37], v[38:39], 1.0
	s_delay_alu instid0(VALU_DEP_1) | instskip(NEXT) | instid1(VALU_DEP_1)
	v_fma_f64 v[38:39], v[40:41], v[38:39], v[38:39]
	v_fma_f64 v[40:41], -v[36:37], v[38:39], 1.0
	s_delay_alu instid0(VALU_DEP_1) | instskip(NEXT) | instid1(VALU_DEP_1)
	v_fma_f64 v[38:39], v[40:41], v[38:39], v[38:39]
	v_mul_f64 v[40:41], v[34:35], v[38:39]
	s_delay_alu instid0(VALU_DEP_1) | instskip(NEXT) | instid1(VALU_DEP_1)
	v_mul_f64 v[42:43], v[36:37], v[40:41]
	v_fma_f64 v[36:37], v[40:41], v[36:37], -v[42:43]
	s_delay_alu instid0(VALU_DEP_1) | instskip(NEXT) | instid1(VALU_DEP_1)
	v_fma_f64 v[32:33], v[40:41], v[32:33], v[36:37]
	v_add_f64 v[36:37], v[42:43], v[32:33]
	s_delay_alu instid0(VALU_DEP_1) | instskip(SKIP_1) | instid1(VALU_DEP_2)
	v_add_f64 v[46:47], v[34:35], -v[36:37]
	v_add_f64 v[42:43], v[36:37], -v[42:43]
	;; [unrolled: 1-line block ×3, first 2 shown]
	s_delay_alu instid0(VALU_DEP_2) | instskip(NEXT) | instid1(VALU_DEP_2)
	v_add_f64 v[32:33], v[42:43], -v[32:33]
	v_add_f64 v[34:35], v[34:35], -v[36:37]
	s_delay_alu instid0(VALU_DEP_1) | instskip(NEXT) | instid1(VALU_DEP_1)
	v_add_f64 v[32:33], v[32:33], v[34:35]
	v_add_f64 v[32:33], v[46:47], v[32:33]
	s_delay_alu instid0(VALU_DEP_1) | instskip(NEXT) | instid1(VALU_DEP_1)
	v_mul_f64 v[32:33], v[38:39], v[32:33]
	v_add_f64 v[34:35], v[40:41], v[32:33]
	s_delay_alu instid0(VALU_DEP_1) | instskip(SKIP_1) | instid1(VALU_DEP_2)
	v_add_f64 v[36:37], v[34:35], -v[40:41]
	v_ldexp_f64 v[40:41], v[34:35], 1
	v_add_f64 v[32:33], v[32:33], -v[36:37]
	v_mul_f64 v[36:37], v[34:35], v[34:35]
	s_delay_alu instid0(VALU_DEP_2) | instskip(NEXT) | instid1(VALU_DEP_2)
	v_ldexp_f64 v[32:33], v[32:33], 1
	v_fma_f64 v[38:39], v[36:37], s[12:13], s[6:7]
	v_mul_f64 v[34:35], v[34:35], v[36:37]
	s_delay_alu instid0(VALU_DEP_2) | instskip(NEXT) | instid1(VALU_DEP_1)
	v_fma_f64 v[38:39], v[36:37], v[38:39], s[14:15]
	v_fma_f64 v[38:39], v[36:37], v[38:39], s[16:17]
	s_delay_alu instid0(VALU_DEP_1) | instskip(NEXT) | instid1(VALU_DEP_1)
	v_fma_f64 v[38:39], v[36:37], v[38:39], s[18:19]
	v_fma_f64 v[38:39], v[36:37], v[38:39], s[20:21]
	s_delay_alu instid0(VALU_DEP_1) | instskip(NEXT) | instid1(VALU_DEP_1)
	v_fma_f64 v[38:39], v[36:37], v[38:39], s[26:27]
	v_mul_f64 v[34:35], v[34:35], v[38:39]
	s_delay_alu instid0(VALU_DEP_1) | instskip(NEXT) | instid1(VALU_DEP_1)
	v_add_f64 v[36:37], v[40:41], v[34:35]
	v_add_f64 v[38:39], v[36:37], -v[40:41]
	s_delay_alu instid0(VALU_DEP_1) | instskip(NEXT) | instid1(VALU_DEP_1)
	v_add_f64 v[34:35], v[34:35], -v[38:39]
	v_add_f64 v[32:33], v[32:33], v[34:35]
	s_delay_alu instid0(VALU_DEP_1) | instskip(NEXT) | instid1(VALU_DEP_1)
	v_add_f64 v[34:35], v[36:37], v[32:33]
	v_add_f64 v[36:37], v[34:35], -v[36:37]
	s_delay_alu instid0(VALU_DEP_1) | instskip(SKIP_1) | instid1(VALU_DEP_1)
	v_add_f64 v[32:33], v[32:33], -v[36:37]
	v_cvt_f64_i32_e32 v[36:37], v144
	v_mul_f64 v[38:39], v[36:37], s[22:23]
	s_delay_alu instid0(VALU_DEP_1) | instskip(NEXT) | instid1(VALU_DEP_1)
	v_fma_f64 v[40:41], v[36:37], s[22:23], -v[38:39]
	v_fma_f64 v[36:37], v[36:37], s[24:25], v[40:41]
	s_delay_alu instid0(VALU_DEP_1) | instskip(NEXT) | instid1(VALU_DEP_1)
	v_add_f64 v[40:41], v[38:39], v[36:37]
	v_add_f64 v[38:39], v[40:41], -v[38:39]
	s_delay_alu instid0(VALU_DEP_1) | instskip(SKIP_1) | instid1(VALU_DEP_1)
	v_add_f64 v[36:37], v[36:37], -v[38:39]
	v_add_f64 v[38:39], v[40:41], v[34:35]
	v_add_f64 v[42:43], v[38:39], -v[40:41]
	s_delay_alu instid0(VALU_DEP_1) | instskip(SKIP_1) | instid1(VALU_DEP_2)
	v_add_f64 v[46:47], v[38:39], -v[42:43]
	v_add_f64 v[34:35], v[34:35], -v[42:43]
	;; [unrolled: 1-line block ×3, first 2 shown]
	s_delay_alu instid0(VALU_DEP_1) | instskip(SKIP_1) | instid1(VALU_DEP_1)
	v_add_f64 v[34:35], v[34:35], v[40:41]
	v_add_f64 v[40:41], v[36:37], v[32:33]
	v_add_f64 v[42:43], v[40:41], -v[36:37]
	s_delay_alu instid0(VALU_DEP_3) | instskip(NEXT) | instid1(VALU_DEP_2)
	v_add_f64 v[34:35], v[40:41], v[34:35]
	v_add_f64 v[46:47], v[40:41], -v[42:43]
	v_add_f64 v[32:33], v[32:33], -v[42:43]
	s_delay_alu instid0(VALU_DEP_2) | instskip(NEXT) | instid1(VALU_DEP_1)
	v_add_f64 v[36:37], v[36:37], -v[46:47]
	v_add_f64 v[32:33], v[32:33], v[36:37]
	v_add_f64 v[36:37], v[38:39], v[34:35]
	s_delay_alu instid0(VALU_DEP_1) | instskip(NEXT) | instid1(VALU_DEP_1)
	v_add_f64 v[38:39], v[36:37], -v[38:39]
	v_add_f64 v[34:35], v[34:35], -v[38:39]
	s_delay_alu instid0(VALU_DEP_1) | instskip(NEXT) | instid1(VALU_DEP_1)
	v_add_f64 v[32:33], v[32:33], v[34:35]
	v_add_f64 v[32:33], v[36:37], v[32:33]
	s_delay_alu instid0(VALU_DEP_1) | instskip(SKIP_1) | instid1(VALU_DEP_2)
	v_dual_cndmask_b32 v32, v32, v3 :: v_dual_cndmask_b32 v33, v33, v4
	v_cmp_ngt_f64_e32 vcc_lo, 0, v[3:4]
	v_cndmask_b32_e32 v33, 0x7ff80000, v33, vcc_lo
	v_cmp_nge_f64_e32 vcc_lo, 0, v[3:4]
	s_delay_alu instid0(VALU_DEP_4)
	v_cndmask_b32_e32 v32, 0, v32, vcc_lo
	scratch_store_b64 off, v[0:1], off offset:2224 ; 8-byte Folded Spill
	scratch_load_b64 v[0:1], off, off offset:2216 ; 8-byte Folded Reload
	v_cmp_neq_f64_e32 vcc_lo, 0, v[3:4]
	v_cndmask_b32_e32 v33, 0xfff00000, v33, vcc_lo
	s_waitcnt vmcnt(0)
	s_delay_alu instid0(VALU_DEP_1)
	v_add_f64 v[0:1], v[0:1], v[32:33]
	scratch_store_b64 off, v[0:1], off offset:2216 ; 8-byte Folded Spill
.LBB0_27:
	s_clause 0x10
	scratch_load_b128 v[0:3], off, off offset:640
	scratch_load_b128 v[184:187], off, off offset:336
	;; [unrolled: 1-line block ×11, first 2 shown]
	scratch_load_b128 v[158:161], off, off
	scratch_load_b128 v[162:165], off, off
	;; [unrolled: 1-line block ×3, first 2 shown]
	scratch_load_b128 v[48:51], off, off offset:16
	scratch_load_b128 v[60:63], off, off offset:64
	;; [unrolled: 1-line block ×3, first 2 shown]
	v_dual_mov_b32 v73, v8 :: v_dual_mov_b32 v70, v5
	v_dual_mov_b32 v71, v6 :: v_dual_mov_b32 v72, v7
	scratch_load_b128 v[4:7], off, off offset:688 ; 16-byte Folded Reload
	s_waitcnt vmcnt(16)
	v_fma_f64 v[32:33], v[184:185], v[140:141], 0
	s_waitcnt vmcnt(15)
	v_fma_f64 v[42:43], v[54:55], v[140:141], 0
	v_fma_f64 v[40:41], v[52:53], v[140:141], 0
	s_waitcnt vmcnt(13)
	v_fma_f64 v[38:39], v[190:191], v[140:141], 0
	v_fma_f64 v[34:35], v[186:187], v[140:141], 0
	;; [unrolled: 1-line block ×10, first 2 shown]
	s_waitcnt vmcnt(9)
	v_fma_f64 v[9:10], v[78:79], v[142:143], v[32:33]
	v_fma_f64 v[24:25], v[108:109], v[142:143], v[42:43]
	;; [unrolled: 1-line block ×11, first 2 shown]
	s_waitcnt vmcnt(6)
	v_fma_f64 v[156:157], v[160:161], v[134:135], v[156:157]
	v_fma_f64 v[160:161], v[52:53], v[128:129], 0
	;; [unrolled: 1-line block ×9, first 2 shown]
	scratch_load_b128 v[24:27], off, off offset:1432 ; 16-byte Folded Reload
	v_fma_f64 v[170:171], v[22:23], v[110:111], v[15:16]
	v_fma_f64 v[172:173], v[94:95], v[110:111], v[17:18]
	scratch_load_b128 v[16:19], off, off offset:256 ; 16-byte Folded Reload
	v_fma_f64 v[46:47], v[178:179], v[140:141], 0
	v_fma_f64 v[140:141], v[180:181], v[140:141], 0
	;; [unrolled: 1-line block ×8, first 2 shown]
	v_mov_b32_e32 v99, v97
	v_dual_mov_b32 v98, v96 :: v_dual_mov_b32 v97, v95
	v_mov_b32_e32 v96, v94
	s_waitcnt vmcnt(7)
	v_fma_f64 v[160:161], v[162:163], v[130:131], v[160:161]
	v_fma_f64 v[162:163], v[54:55], v[128:129], 0
	s_waitcnt vmcnt(6)
	v_fma_f64 v[164:165], v[178:179], v[128:129], 0
	v_fma_f64 v[42:43], v[82:83], v[130:131], v[42:43]
	;; [unrolled: 1-line block ×18, first 2 shown]
	scratch_load_b128 v[12:15], off, off offset:784 ; 16-byte Folded Reload
	v_fma_f64 v[142:143], v[78:79], v[138:139], v[142:143]
	v_fma_f64 v[136:137], v[126:127], v[138:139], v[136:137]
	;; [unrolled: 1-line block ×5, first 2 shown]
	s_waitcnt vmcnt(6)
	v_fma_f64 v[36:37], v[48:49], v[122:123], v[36:37]
	v_fma_f64 v[38:39], v[50:51], v[122:123], v[38:39]
	;; [unrolled: 1-line block ×10, first 2 shown]
	s_waitcnt vmcnt(5)
	v_fma_f64 v[66:67], v[60:61], v[122:123], v[66:67]
	v_fma_f64 v[134:135], v[78:79], v[130:131], v[134:135]
	;; [unrolled: 1-line block ×4, first 2 shown]
	s_delay_alu instid0(VALU_DEP_1)
	v_fma_f64 v[130:131], v[60:61], v[112:113], v[130:131]
	s_waitcnt vmcnt(2)
	v_fma_f64 v[40:41], v[24:25], v[120:121], v[40:41]
	v_fma_f64 v[120:121], v[26:27], v[120:121], v[136:137]
	;; [unrolled: 1-line block ×5, first 2 shown]
	s_waitcnt vmcnt(1)
	v_fma_f64 v[32:33], v[16:17], v[122:123], v[32:33]
	v_fma_f64 v[34:35], v[18:19], v[122:123], v[34:35]
	;; [unrolled: 1-line block ×39, first 2 shown]
	scratch_load_b128 v[112:115], off, off offset:352 ; 16-byte Folded Reload
	v_fma_f64 v[160:161], v[74:75], v[70:71], v[174:175]
	scratch_load_b128 v[174:177], off, off offset:800 ; 16-byte Folded Reload
	v_fma_f64 v[108:109], v[76:77], v[70:71], v[64:65]
	v_fma_f64 v[118:119], v[60:61], v[2:3], v[118:119]
	;; [unrolled: 1-line block ×6, first 2 shown]
	scratch_load_b128 v[0:3], off, off offset:128 ; 16-byte Folded Reload
	v_fma_f64 v[154:155], v[6:7], v[70:71], v[168:169]
	s_waitcnt vmcnt(2)
	v_fma_f64 v[8:9], v[112:113], v[70:71], v[130:131]
	v_fma_f64 v[130:131], v[114:115], v[70:71], v[140:141]
	v_fma_f64 v[140:141], v[4:5], v[70:71], v[166:167]
	v_fma_f64 v[110:111], v[112:113], v[88:89], v[66:67]
	v_fma_f64 v[66:67], v[114:115], v[88:89], v[136:137]
	v_fma_f64 v[106:107], v[112:113], v[100:101], v[122:123]
	v_fma_f64 v[122:123], v[114:115], v[100:101], v[132:133]
	v_fma_f64 v[132:133], v[6:7], v[100:101], v[142:143]
	v_fma_f64 v[142:143], v[74:75], v[100:101], v[150:151]
	scratch_load_b128 v[166:169], off, off offset:368 ; 16-byte Folded Reload
	s_waitcnt vmcnt(1)
	v_fma_f64 v[156:157], v[0:1], v[70:71], v[170:171]
	v_fma_f64 v[158:159], v[2:3], v[70:71], v[172:173]
	scratch_load_b128 v[170:173], off, off offset:768 ; 16-byte Folded Reload
	v_fma_f64 v[36:37], v[0:1], v[88:89], v[36:37]
	v_fma_f64 v[38:39], v[2:3], v[88:89], v[38:39]
	v_fma_f64 v[136:137], v[0:1], v[100:101], v[146:147]
	s_waitcnt vmcnt(1)
	v_fma_f64 v[44:45], v[168:169], v[72:73], v[108:109]
	v_fma_f64 v[40:41], v[166:167], v[90:91], v[40:41]
	;; [unrolled: 1-line block ×3, first 2 shown]
	s_waitcnt vmcnt(0)
	v_fma_f64 v[10:11], v[172:173], v[72:73], v[158:159]
	v_fma_f64 v[158:159], v[166:167], v[72:73], v[160:161]
	scratch_load_b128 v[160:163], off, off  ; 16-byte Folded Reload
	v_fma_f64 v[32:33], v[12:13], v[90:91], v[32:33]
	v_fma_f64 v[34:35], v[14:15], v[90:91], v[34:35]
	;; [unrolled: 1-line block ×4, first 2 shown]
	scratch_load_b128 v[162:165], off, off  ; 16-byte Folded Reload
	v_fma_f64 v[94:95], v[174:175], v[72:73], v[8:9]
	v_fma_f64 v[64:65], v[176:177], v[72:73], v[130:131]
	;; [unrolled: 1-line block ×7, first 2 shown]
	scratch_load_b128 v[88:91], off, off offset:864 ; 16-byte Folded Reload
	v_fma_f64 v[70:71], v[174:175], v[102:103], v[106:107]
	scratch_store_b64 off, v[66:67], off offset:896 ; 8-byte Folded Spill
	v_fma_f64 v[66:67], v[4:5], v[100:101], v[138:139]
	v_fma_f64 v[138:139], v[2:3], v[100:101], v[148:149]
	;; [unrolled: 1-line block ×3, first 2 shown]
	s_delay_alu instid0(VALU_DEP_3)
	v_fma_f64 v[86:87], v[12:13], v[102:103], v[66:67]
	v_fma_f64 v[66:67], v[14:15], v[102:103], v[132:133]
	scratch_store_b64 off, v[70:71], off offset:928 ; 8-byte Folded Spill
	v_fma_f64 v[132:133], v[170:171], v[102:103], v[136:137]
	v_fma_f64 v[70:71], v[176:177], v[102:103], v[122:123]
	scratch_store_b64 off, v[66:67], off offset:960 ; 8-byte Folded Spill
	v_fma_f64 v[66:67], v[172:173], v[102:103], v[138:139]
	v_dual_mov_b32 v136, v184 :: v_dual_mov_b32 v137, v185
	v_dual_mov_b32 v138, v186 :: v_dual_mov_b32 v139, v187
	scratch_store_b64 off, v[66:67], off offset:968 ; 8-byte Folded Spill
	v_fma_f64 v[66:67], v[166:167], v[102:103], v[142:143]
	scratch_store_b64 off, v[66:67], off offset:992 ; 8-byte Folded Spill
	v_fma_f64 v[66:67], v[168:169], v[102:103], v[100:101]
	s_clause 0x1
	scratch_store_b64 off, v[70:71], off offset:936
	scratch_store_b64 off, v[66:67], off offset:904
	s_waitcnt vmcnt(0)
	v_fma_f64 v[102:103], v[136:137], v[88:89], 0
	v_fma_f64 v[142:143], v[138:139], v[88:89], 0
	;; [unrolled: 1-line block ×8, first 2 shown]
	scratch_store_b64 off, v[66:67], off offset:1096 ; 8-byte Folded Spill
	v_fma_f64 v[66:67], v[80:81], v[90:91], v[142:143]
	v_fma_f64 v[142:143], v[126:127], v[90:91], v[92:93]
	scratch_store_b64 off, v[66:67], off offset:1192 ; 8-byte Folded Spill
	v_fma_f64 v[66:67], v[82:83], v[90:91], v[146:147]
	v_fma_f64 v[146:147], v[124:125], v[90:91], v[162:163]
	scratch_store_b64 off, v[66:67], off offset:1200 ; 8-byte Folded Spill
	v_fma_f64 v[66:67], v[84:85], v[90:91], v[148:149]
	scratch_store_b64 off, v[66:67], off offset:1208 ; 8-byte Folded Spill
	v_fma_f64 v[66:67], v[160:161], v[90:91], v[150:151]
	v_fma_f64 v[160:161], v[54:55], v[88:89], 0
	v_dual_mov_b32 v151, v55 :: v_dual_mov_b32 v150, v54
	v_dual_mov_b32 v149, v53 :: v_dual_mov_b32 v148, v52
	scratch_store_b64 off, v[66:67], off offset:1216 ; 8-byte Folded Spill
	v_fma_f64 v[164:165], v[164:165], v[90:91], v[160:161]
	scratch_load_b128 v[88:91], off, off offset:880 ; 16-byte Folded Reload
	s_waitcnt vmcnt(0)
	v_fma_f64 v[84:85], v[112:113], v[88:89], v[118:119]
	v_fma_f64 v[118:119], v[114:115], v[88:89], v[128:129]
	v_fma_f64 v[42:43], v[4:5], v[88:89], v[42:43]
	v_fma_f64 v[46:47], v[6:7], v[88:89], v[46:47]
	v_fma_f64 v[128:129], v[0:1], v[88:89], v[134:135]
	v_fma_f64 v[134:135], v[2:3], v[88:89], v[144:145]
	v_fma_f64 v[144:145], v[74:75], v[88:89], v[152:153]
	v_fma_f64 v[88:89], v[76:77], v[88:89], v[68:69]
	v_fma_f64 v[66:67], v[174:175], v[90:91], v[84:85]
	v_fma_f64 v[70:71], v[176:177], v[90:91], v[118:119]
	v_fma_f64 v[82:83], v[12:13], v[90:91], v[42:43]
	v_fma_f64 v[46:47], v[14:15], v[90:91], v[46:47]
	v_fma_f64 v[128:129], v[170:171], v[90:91], v[128:129]
	v_fma_f64 v[134:135], v[172:173], v[90:91], v[134:135]
	v_fma_f64 v[144:145], v[166:167], v[90:91], v[144:145]
	v_fma_f64 v[68:69], v[168:169], v[90:91], v[88:89]
	s_clause 0x6
	scratch_load_b128 v[100:103], off, off offset:400
	scratch_load_b128 v[88:91], off, off offset:624
	;; [unrolled: 1-line block ×4, first 2 shown]
	scratch_load_b128 v[184:187], off, off
	scratch_load_b128 v[108:111], off, off offset:448
	scratch_load_b128 v[120:123], off, off offset:432
	v_dual_mov_b32 v119, v15 :: v_dual_mov_b32 v118, v14
	v_dual_mov_b32 v117, v13 :: v_dual_mov_b32 v116, v12
	scratch_load_b128 v[104:107], off, off offset:416 ; 16-byte Folded Reload
	s_waitcnt vmcnt(6)
	v_fma_f64 v[92:93], v[102:103], v[88:89], v[64:65]
	s_waitcnt vmcnt(5)
	v_fma_f64 v[84:85], v[154:155], v[88:89], v[130:131]
	v_fma_f64 v[64:65], v[156:157], v[88:89], v[140:141]
	s_waitcnt vmcnt(4)
	v_fma_f64 v[130:131], v[160:161], v[88:89], v[8:9]
	v_fma_f64 v[140:141], v[162:163], v[88:89], v[10:11]
	scratch_load_b128 v[8:11], off, off offset:384 ; 16-byte Folded Reload
	v_fma_f64 v[42:43], v[100:101], v[88:89], v[94:95]
	s_waitcnt vmcnt(3)
	s_delay_alu instid0(VALU_DEP_1)
	v_fma_f64 v[42:43], v[108:109], v[90:91], v[42:43]
	scratch_store_b64 off, v[42:43], off offset:640 ; 8-byte Folded Spill
	v_fma_f64 v[42:43], v[110:111], v[90:91], v[92:93]
	v_dual_mov_b32 v95, v81 :: v_dual_mov_b32 v94, v80
	v_dual_mov_b32 v93, v79 :: v_dual_mov_b32 v92, v78
	scratch_store_b64 off, v[42:43], off offset:1040 ; 8-byte Folded Spill
	s_waitcnt vmcnt(2)
	v_fma_f64 v[42:43], v[120:121], v[90:91], v[84:85]
	scratch_store_b64 off, v[42:43], off offset:1008 ; 8-byte Folded Spill
	v_fma_f64 v[42:43], v[122:123], v[90:91], v[64:65]
	scratch_store_b64 off, v[42:43], off offset:976 ; 8-byte Folded Spill
	s_waitcnt vmcnt(1)
	v_fma_f64 v[42:43], v[104:105], v[90:91], v[130:131]
	scratch_store_b64 off, v[42:43], off offset:944 ; 8-byte Folded Spill
	v_fma_f64 v[42:43], v[106:107], v[90:91], v[140:141]
	scratch_store_b64 off, v[42:43], off offset:912 ; 8-byte Folded Spill
	s_waitcnt vmcnt(0)
	v_fma_f64 v[152:153], v[8:9], v[88:89], v[158:159]
	v_fma_f64 v[88:89], v[10:11], v[88:89], v[44:45]
	scratch_load_b128 v[42:45], off, off offset:704 ; 16-byte Folded Reload
	s_waitcnt vmcnt(0)
	v_fma_f64 v[158:159], v[42:43], v[90:91], v[152:153]
	v_fma_f64 v[12:13], v[44:45], v[90:91], v[88:89]
	scratch_load_b128 v[88:91], off, off offset:608 ; 16-byte Folded Reload
	scratch_store_b64 off, v[12:13], off offset:880 ; 8-byte Folded Spill
	scratch_load_b64 v[12:13], off, off offset:896 ; 8-byte Folded Reload
	s_waitcnt vmcnt(1)
	v_fma_f64 v[64:65], v[100:101], v[88:89], v[72:73]
	v_fma_f64 v[32:33], v[154:155], v[88:89], v[32:33]
	;; [unrolled: 1-line block ×7, first 2 shown]
	s_waitcnt vmcnt(0)
	v_fma_f64 v[72:73], v[102:103], v[88:89], v[12:13]
	v_fma_f64 v[12:13], v[108:109], v[90:91], v[64:65]
	scratch_store_b64 off, v[12:13], off offset:1072 ; 8-byte Folded Spill
	v_fma_f64 v[12:13], v[110:111], v[90:91], v[72:73]
	scratch_store_b64 off, v[12:13], off offset:1048 ; 8-byte Folded Spill
	;; [unrolled: 2-line block ×8, first 2 shown]
	s_clause 0x2
	scratch_load_b128 v[88:91], off, off offset:272
	scratch_load_b64 v[12:13], off, off offset:928
	scratch_load_b128 v[52:55], off, off offset:720
	s_waitcnt vmcnt(2)
	v_fma_f64 v[36:37], v[154:155], v[88:89], v[86:87]
	s_waitcnt vmcnt(1)
	v_fma_f64 v[32:33], v[100:101], v[88:89], v[12:13]
	scratch_load_b64 v[12:13], off, off offset:936 ; 8-byte Folded Reload
	v_fma_f64 v[40:41], v[160:161], v[88:89], v[132:133]
	s_waitcnt vmcnt(0)
	v_fma_f64 v[34:35], v[102:103], v[88:89], v[12:13]
	scratch_load_b64 v[12:13], off, off offset:960 ; 8-byte Folded Reload
	s_waitcnt vmcnt(0)
	v_fma_f64 v[38:39], v[156:157], v[88:89], v[12:13]
	scratch_load_b64 v[12:13], off, off offset:968 ; 8-byte Folded Reload
	;; [unrolled: 3-line block ×4, first 2 shown]
	s_waitcnt vmcnt(0)
	v_fma_f64 v[80:81], v[10:11], v[88:89], v[12:13]
	v_fma_f64 v[12:13], v[108:109], v[90:91], v[32:33]
	;; [unrolled: 1-line block ×3, first 2 shown]
	scratch_store_b64 off, v[12:13], off offset:1080 ; 8-byte Folded Spill
	v_fma_f64 v[12:13], v[110:111], v[90:91], v[34:35]
	v_fma_f64 v[34:35], v[102:103], v[52:53], v[70:71]
	;; [unrolled: 1-line block ×3, first 2 shown]
	scratch_store_b64 off, v[12:13], off offset:1056 ; 8-byte Folded Spill
	v_fma_f64 v[12:13], v[120:121], v[90:91], v[36:37]
	scratch_store_b64 off, v[32:33], off offset:1088 ; 8-byte Folded Spill
	v_fma_f64 v[36:37], v[154:155], v[52:53], v[82:83]
	v_fma_f64 v[32:33], v[110:111], v[54:55], v[34:35]
	scratch_store_b64 off, v[12:13], off offset:1024 ; 8-byte Folded Spill
	v_fma_f64 v[12:13], v[122:123], v[90:91], v[38:39]
	;; [unrolled: 3-line block ×3, first 2 shown]
	v_fma_f64 v[46:47], v[162:163], v[52:53], v[134:135]
	v_dual_mov_b32 v135, v59 :: v_dual_mov_b32 v134, v58
	v_dual_mov_b32 v133, v57 :: v_dual_mov_b32 v132, v56
	scratch_store_b64 off, v[12:13], off offset:992 ; 8-byte Folded Spill
	v_fma_f64 v[12:13], v[104:105], v[90:91], v[40:41]
	v_fma_f64 v[40:41], v[160:161], v[52:53], v[128:129]
	scratch_store_b64 off, v[32:33], off offset:1032 ; 8-byte Folded Spill
	v_fma_f64 v[32:33], v[122:123], v[54:55], v[38:39]
	scratch_store_b64 off, v[12:13], off offset:960 ; 8-byte Folded Spill
	;; [unrolled: 2-line block ×6, first 2 shown]
	v_fma_f64 v[12:13], v[44:45], v[90:91], v[80:81]
	v_fma_f64 v[80:81], v[8:9], v[52:53], v[144:145]
	scratch_store_b64 off, v[32:33], off offset:936 ; 8-byte Folded Spill
	v_fma_f64 v[52:53], v[10:11], v[52:53], v[68:69]
	v_fma_f64 v[140:141], v[42:43], v[54:55], v[80:81]
	s_delay_alu instid0(VALU_DEP_2)
	v_fma_f64 v[32:33], v[44:45], v[54:55], v[52:53]
	scratch_store_b64 off, v[12:13], off offset:624 ; 8-byte Folded Spill
	v_dual_mov_b32 v12, v60 :: v_dual_mov_b32 v13, v61
	v_dual_mov_b32 v14, v62 :: v_dual_mov_b32 v15, v63
	scratch_store_b64 off, v[32:33], off offset:608 ; 8-byte Folded Spill
	s_clause 0x6
	scratch_load_b128 v[54:57], off, off offset:816
	scratch_load_b64 v[32:33], off, off offset:1096
	scratch_load_b64 v[34:35], off, off offset:1192
	;; [unrolled: 1-line block ×5, first 2 shown]
	scratch_load_b128 v[128:131], off, off offset:32
	s_waitcnt vmcnt(6)
	v_fma_f64 v[46:47], v[98:99], v[54:55], v[164:165]
	s_waitcnt vmcnt(5)
	v_fma_f64 v[32:33], v[28:29], v[54:55], v[32:33]
	s_waitcnt vmcnt(4)
	v_fma_f64 v[34:35], v[30:31], v[54:55], v[34:35]
	s_waitcnt vmcnt(3)
	v_fma_f64 v[36:37], v[20:21], v[54:55], v[36:37]
	s_waitcnt vmcnt(2)
	v_fma_f64 v[38:39], v[22:23], v[54:55], v[38:39]
	s_waitcnt vmcnt(1)
	v_fma_f64 v[40:41], v[96:97], v[54:55], v[40:41]
	v_fma_f64 v[52:53], v[24:25], v[54:55], v[146:147]
	v_fma_f64 v[68:69], v[26:27], v[54:55], v[142:143]
	v_dual_mov_b32 v147, v139 :: v_dual_mov_b32 v146, v138
	v_dual_mov_b32 v145, v137 :: v_dual_mov_b32 v144, v136
	v_fma_f64 v[46:47], v[50:51], v[56:57], v[46:47]
	v_fma_f64 v[32:33], v[12:13], v[56:57], v[32:33]
	;; [unrolled: 1-line block ×8, first 2 shown]
	scratch_load_b128 v[54:57], off, off offset:288 ; 16-byte Folded Reload
	s_waitcnt vmcnt(0)
	v_fma_f64 v[70:71], v[136:137], v[54:55], 0
	v_fma_f64 v[78:79], v[138:139], v[54:55], 0
	v_fma_f64 v[80:81], v[188:189], v[54:55], 0
	v_fma_f64 v[82:83], v[190:191], v[54:55], 0
	v_fma_f64 v[84:85], v[148:149], v[54:55], 0
	v_fma_f64 v[86:87], v[150:151], v[54:55], 0
	v_fma_f64 v[88:89], v[178:179], v[54:55], 0
	v_fma_f64 v[72:73], v[180:181], v[54:55], 0
	v_dual_mov_b32 v139, v51 :: v_dual_mov_b32 v138, v50
	v_dual_mov_b32 v137, v49 :: v_dual_mov_b32 v136, v48
	v_fma_f64 v[70:71], v[92:93], v[56:57], v[70:71]
	v_fma_f64 v[78:79], v[94:95], v[56:57], v[78:79]
	;; [unrolled: 1-line block ×8, first 2 shown]
	scratch_load_b128 v[54:57], off, off offset:528 ; 16-byte Folded Reload
	s_waitcnt vmcnt(0)
	v_fma_f64 v[32:33], v[112:113], v[54:55], v[32:33]
	v_fma_f64 v[34:35], v[114:115], v[54:55], v[34:35]
	;; [unrolled: 1-line block ×16, first 2 shown]
	scratch_load_b128 v[56:59], off, off offset:512 ; 16-byte Folded Reload
	s_waitcnt vmcnt(0)
	v_fma_f64 v[62:63], v[28:29], v[56:57], v[70:71]
	v_fma_f64 v[70:71], v[30:31], v[56:57], v[78:79]
	v_fma_f64 v[52:53], v[20:21], v[56:57], v[80:81]
	v_fma_f64 v[54:55], v[22:23], v[56:57], v[82:83]
	v_fma_f64 v[78:79], v[96:97], v[56:57], v[84:85]
	v_fma_f64 v[80:81], v[98:99], v[56:57], v[86:87]
	v_fma_f64 v[82:83], v[24:25], v[56:57], v[88:89]
	v_fma_f64 v[64:65], v[26:27], v[56:57], v[72:73]
	v_fma_f64 v[62:63], v[12:13], v[58:59], v[62:63]
	v_fma_f64 v[70:71], v[14:15], v[58:59], v[70:71]
	v_fma_f64 v[72:73], v[16:17], v[58:59], v[52:53]
	v_fma_f64 v[54:55], v[18:19], v[58:59], v[54:55]
	v_fma_f64 v[56:57], v[48:49], v[58:59], v[78:79]
	v_fma_f64 v[78:79], v[50:51], v[58:59], v[80:81]
	v_fma_f64 v[80:81], v[132:133], v[58:59], v[82:83]
	s_clause 0x1
	scratch_load_b128 v[82:85], off, off offset:496
	scratch_load_b128 v[48:51], off, off offset:848
	v_fma_f64 v[64:65], v[134:135], v[58:59], v[64:65]
	s_waitcnt vmcnt(1)
	v_fma_f64 v[32:33], v[100:101], v[82:83], v[32:33]
	v_fma_f64 v[34:35], v[102:103], v[82:83], v[34:35]
	;; [unrolled: 1-line block ×9, first 2 shown]
	s_delay_alu instid0(VALU_DEP_4) | instskip(NEXT) | instid1(VALU_DEP_4)
	v_fma_f64 v[86:87], v[120:121], v[84:85], v[36:37]
	v_fma_f64 v[40:41], v[44:45], v[84:85], v[52:53]
	s_waitcnt vmcnt(0)
	v_fma_f64 v[36:37], v[4:5], v[48:49], v[72:73]
	v_fma_f64 v[52:53], v[2:3], v[48:49], v[78:79]
	;; [unrolled: 1-line block ×3, first 2 shown]
	scratch_store_b64 off, v[32:33], off offset:528 ; 8-byte Folded Spill
	v_fma_f64 v[32:33], v[110:111], v[84:85], v[34:35]
	v_fma_f64 v[34:35], v[114:115], v[48:49], v[70:71]
	;; [unrolled: 1-line block ×4, first 2 shown]
	scratch_store_b64 off, v[32:33], off offset:512 ; 8-byte Folded Spill
	v_fma_f64 v[32:33], v[122:123], v[84:85], v[38:39]
	v_fma_f64 v[38:39], v[6:7], v[48:49], v[54:55]
	;; [unrolled: 1-line block ×4, first 2 shown]
	scratch_load_b128 v[78:81], off, off offset:464 ; 16-byte Folded Reload
	scratch_store_b64 off, v[32:33], off offset:1352 ; 8-byte Folded Spill
	v_fma_f64 v[32:33], v[104:105], v[84:85], v[66:67]
	v_fma_f64 v[38:39], v[118:119], v[50:51], v[38:39]
	;; [unrolled: 1-line block ×3, first 2 shown]
	scratch_store_b64 off, v[32:33], off offset:1264 ; 8-byte Folded Spill
	v_fma_f64 v[32:33], v[106:107], v[84:85], v[46:47]
	v_fma_f64 v[46:47], v[0:1], v[48:49], v[56:57]
	;; [unrolled: 1-line block ×3, first 2 shown]
	v_dual_mov_b32 v85, v27 :: v_dual_mov_b32 v84, v26
	v_dual_mov_b32 v83, v25 :: v_dual_mov_b32 v82, v24
	scratch_store_b64 off, v[32:33], off offset:1096 ; 8-byte Folded Spill
	v_fma_f64 v[32:33], v[112:113], v[48:49], v[62:63]
	v_fma_f64 v[46:47], v[170:171], v[50:51], v[46:47]
	;; [unrolled: 1-line block ×3, first 2 shown]
	s_delay_alu instid0(VALU_DEP_3)
	v_fma_f64 v[32:33], v[174:175], v[50:51], v[32:33]
	scratch_load_b128 v[48:51], off, off offset:480 ; 16-byte Folded Reload
	s_waitcnt vmcnt(1)
	v_fma_f64 v[32:33], v[100:101], v[78:79], v[32:33]
	v_fma_f64 v[46:47], v[160:161], v[78:79], v[46:47]
	;; [unrolled: 1-line block ×6, first 2 shown]
	s_delay_alu instid0(VALU_DEP_4) | instskip(NEXT) | instid1(VALU_DEP_4)
	v_fma_f64 v[164:165], v[110:111], v[80:81], v[34:35]
	v_fma_f64 v[182:183], v[120:121], v[80:81], v[36:37]
	s_delay_alu instid0(VALU_DEP_4)
	v_fma_f64 v[152:153], v[122:123], v[80:81], v[38:39]
	scratch_store_b64 off, v[32:33], off offset:480 ; 8-byte Folded Spill
	v_fma_f64 v[32:33], v[104:105], v[80:81], v[46:47]
	scratch_store_b64 off, v[32:33], off offset:288 ; 8-byte Folded Spill
	s_waitcnt vmcnt(0)
	v_fma_f64 v[58:59], v[144:145], v[48:49], 0
	v_fma_f64 v[60:61], v[146:147], v[48:49], 0
	;; [unrolled: 1-line block ×19, first 2 shown]
	s_delay_alu instid0(VALU_DEP_3)
	v_fma_f64 v[32:33], v[106:107], v[80:81], v[50:51]
	scratch_store_b64 off, v[32:33], off offset:848 ; 8-byte Folded Spill
	v_fma_f64 v[32:33], v[42:43], v[80:81], v[52:53]
	scratch_store_b64 off, v[32:33], off offset:816 ; 8-byte Folded Spill
	v_fma_f64 v[32:33], v[44:45], v[80:81], v[54:55]
	scratch_load_b128 v[78:81], off, off offset:1104 ; 16-byte Folded Reload
	s_waitcnt vmcnt(0)
	v_fma_f64 v[54:55], v[24:25], v[78:79], v[70:71]
	scratch_load_b128 v[70:73], off, off offset:1168 ; 16-byte Folded Reload
	v_fma_f64 v[48:49], v[26:27], v[78:79], v[48:49]
	scratch_load_b128 v[24:27], off, off offset:1152 ; 16-byte Folded Reload
	v_fma_f64 v[34:35], v[28:29], v[78:79], v[58:59]
	v_fma_f64 v[36:37], v[30:31], v[78:79], v[60:61]
	;; [unrolled: 1-line block ×14, first 2 shown]
	v_dual_mov_b32 v81, v3 :: v_dual_mov_b32 v80, v2
	v_dual_mov_b32 v79, v1 :: v_dual_mov_b32 v78, v0
	scratch_load_b128 v[0:3], off, off offset:1136 ; 16-byte Folded Reload
	s_waitcnt vmcnt(2)
	v_fma_f64 v[60:61], v[188:189], v[70:71], 0
	v_fma_f64 v[62:63], v[190:191], v[70:71], 0
	;; [unrolled: 1-line block ×5, first 2 shown]
	v_dual_mov_b32 v148, v174 :: v_dual_mov_b32 v149, v175
	v_dual_mov_b32 v150, v176 :: v_dual_mov_b32 v151, v177
	v_fma_f64 v[68:69], v[178:179], v[70:71], 0
	v_fma_f64 v[58:59], v[146:147], v[70:71], 0
	;; [unrolled: 1-line block ×3, first 2 shown]
	v_dual_mov_b32 v144, v166 :: v_dual_mov_b32 v145, v167
	v_dual_mov_b32 v146, v168 :: v_dual_mov_b32 v147, v169
	v_fma_f64 v[60:61], v[128:129], v[72:73], v[60:61]
	v_fma_f64 v[62:63], v[130:131], v[72:73], v[62:63]
	;; [unrolled: 1-line block ×3, first 2 shown]
	v_dual_mov_b32 v90, v124 :: v_dual_mov_b32 v91, v125
	v_dual_mov_b32 v92, v126 :: v_dual_mov_b32 v93, v127
	;; [unrolled: 1-line block ×8, first 2 shown]
	v_fma_f64 v[64:65], v[184:185], v[72:73], v[64:65]
	v_fma_f64 v[58:59], v[94:95], v[72:73], v[58:59]
	;; [unrolled: 1-line block ×5, first 2 shown]
	s_waitcnt vmcnt(1)
	v_fma_f64 v[60:61], v[20:21], v[24:25], v[60:61]
	v_fma_f64 v[62:63], v[22:23], v[24:25], v[62:63]
	;; [unrolled: 1-line block ×8, first 2 shown]
	v_dual_mov_b32 v97, v77 :: v_dual_mov_b32 v96, v76
	v_dual_mov_b32 v95, v75 :: v_dual_mov_b32 v94, v74
	v_fma_f64 v[60:61], v[16:17], v[26:27], v[60:61]
	v_fma_f64 v[62:63], v[18:19], v[26:27], v[62:63]
	scratch_load_b128 v[16:19], off, off offset:1120 ; 16-byte Folded Reload
	s_waitcnt vmcnt(1)
	v_fma_f64 v[48:49], v[76:77], v[0:1], v[48:49]
	v_fma_f64 v[34:35], v[112:113], v[0:1], v[34:35]
	;; [unrolled: 1-line block ×22, first 2 shown]
	s_waitcnt vmcnt(0)
	v_fma_f64 v[48:49], v[10:11], v[16:17], v[48:49]
	v_fma_f64 v[34:35], v[100:101], v[16:17], v[34:35]
	;; [unrolled: 1-line block ×16, first 2 shown]
	scratch_store_b64 off, v[16:17], off offset:464 ; 8-byte Folded Spill
	scratch_load_b128 v[16:19], off, off offset:832 ; 16-byte Folded Reload
	s_waitcnt vmcnt(0)
	v_fma_f64 v[48:49], v[78:79], v[16:17], v[64:65]
	scratch_load_b64 v[64:65], off, off offset:1184 ; 8-byte Folded Reload
	v_fma_f64 v[38:39], v[4:5], v[16:17], v[60:61]
	v_fma_f64 v[46:47], v[6:7], v[16:17], v[62:63]
	scratch_load_b128 v[4:7], off, off offset:752 ; 16-byte Folded Reload
	v_fma_f64 v[34:35], v[112:113], v[16:17], v[56:57]
	v_fma_f64 v[36:37], v[114:115], v[16:17], v[58:59]
	;; [unrolled: 1-line block ×13, first 2 shown]
	s_waitcnt vmcnt(1)
	v_div_scale_f64 v[56:57], null, v[64:65], v[64:65], 1.0
	s_waitcnt vmcnt(0)
	v_fma_f64 v[34:35], v[100:101], v[4:5], v[34:35]
	v_fma_f64 v[36:37], v[102:103], v[4:5], v[36:37]
	v_fma_f64 v[38:39], v[154:155], v[4:5], v[38:39]
	v_fma_f64 v[46:47], v[156:157], v[4:5], v[46:47]
	v_fma_f64 v[48:49], v[160:161], v[4:5], v[48:49]
	v_fma_f64 v[50:51], v[162:163], v[4:5], v[50:51]
	v_fma_f64 v[52:53], v[8:9], v[4:5], v[52:53]
	v_fma_f64 v[54:55], v[10:11], v[4:5], v[54:55]
	v_rcp_f64_e32 v[58:59], v[56:57]
	v_fma_f64 v[24:25], v[108:109], v[6:7], v[34:35]
	v_fma_f64 v[18:19], v[110:111], v[6:7], v[36:37]
	;; [unrolled: 1-line block ×8, first 2 shown]
	s_delay_alu instid0(TRANS32_DEP_1)
	v_fma_f64 v[60:61], -v[56:57], v[58:59], 1.0
	s_clause 0xb
	scratch_store_b64 off, v[4:5], off offset:496
	scratch_store_b64 off, v[40:41], off offset:1496
	;; [unrolled: 1-line block ×12, first 2 shown]
	v_fma_f64 v[58:59], v[58:59], v[60:61], v[58:59]
	s_delay_alu instid0(VALU_DEP_1) | instskip(NEXT) | instid1(VALU_DEP_1)
	v_fma_f64 v[60:61], -v[56:57], v[58:59], 1.0
	v_fma_f64 v[58:59], v[58:59], v[60:61], v[58:59]
	v_div_scale_f64 v[60:61], vcc_lo, 1.0, v[64:65], 1.0
	s_delay_alu instid0(VALU_DEP_1) | instskip(NEXT) | instid1(VALU_DEP_1)
	v_mul_f64 v[62:63], v[60:61], v[58:59]
	v_fma_f64 v[56:57], -v[56:57], v[62:63], v[60:61]
	s_delay_alu instid0(VALU_DEP_1) | instskip(SKIP_1) | instid1(VALU_DEP_1)
	v_div_fmas_f64 v[56:57], v[56:57], v[58:59], v[62:63]
	s_and_b32 vcc_lo, exec_lo, s30
	v_div_fixup_f64 v[34:35], v[56:57], v[64:65], 1.0
	s_cbranch_vccz .LBB0_30
; %bb.28:
	s_clause 0x9
	scratch_load_b128 v[54:57], off, off offset:544
	scratch_load_b128 v[58:61], off, off offset:560
	scratch_load_b128 v[62:65], off, off offset:576
	scratch_load_b128 v[66:69], off, off offset:592
	scratch_load_b64 v[4:5], off, off offset:640
	scratch_load_b64 v[120:121], off, off offset:976
	scratch_load_b64 v[112:113], off, off offset:984
	scratch_load_b64 v[156:157], off, off offset:992
	scratch_load_b64 v[138:139], off, off offset:1008
	scratch_load_b64 v[128:129], off, off offset:1016
	v_dual_mov_b32 v71, v21 :: v_dual_mov_b32 v70, v20
	v_dual_mov_b32 v21, v3 :: v_dual_mov_b32 v20, v2
	s_clause 0x7
	scratch_load_b64 v[2:3], off, off offset:1352
	scratch_load_b64 v[102:103], off, off offset:944
	;; [unrolled: 1-line block ×8, first 2 shown]
	v_dual_mov_b32 v123, v41 :: v_dual_mov_b32 v122, v40
	s_clause 0xb
	scratch_load_b64 v[40:41], off, off offset:920
	scratch_load_b64 v[188:189], off, off offset:1080
	;; [unrolled: 1-line block ×12, first 2 shown]
	v_dual_mov_b32 v179, v87 :: v_dual_mov_b32 v178, v86
	s_clause 0x3
	scratch_load_b64 v[136:137], off, off offset:1040
	scratch_load_b64 v[76:77], off, off offset:1048
	scratch_load_b64 v[74:75], off, off offset:1064
	scratch_load_b64 v[162:163], off, off offset:1024
	v_dual_mov_b32 v181, v33 :: v_dual_mov_b32 v180, v32
	scratch_load_b64 v[32:33], off, off offset:1032 ; 8-byte Folded Reload
	s_mov_b32 s27, 0
	s_waitcnt vmcnt(34)
	v_fma_f64 v[52:53], v[54:55], v[158:159], 0
	v_dual_mov_b32 v159, v89 :: v_dual_mov_b32 v158, v88
	scratch_load_b64 v[88:89], off, off offset:1000 ; 8-byte Folded Reload
	s_waitcnt vmcnt(30)
	v_fma_f64 v[46:47], v[54:55], v[120:121], 0
	v_fma_f64 v[36:37], v[54:55], v[4:5], 0
	scratch_load_b64 v[4:5], off, off offset:288 ; 8-byte Folded Reload
	s_waitcnt vmcnt(28)
	v_fma_f64 v[44:45], v[54:55], v[138:139], 0
	s_waitcnt vmcnt(25)
	v_fma_f64 v[48:49], v[54:55], v[102:103], 0
	;; [unrolled: 2-line block ×4, first 2 shown]
	v_fma_f64 v[52:53], v[56:57], v[154:155], v[52:53]
	v_fma_f64 v[46:47], v[56:57], v[112:113], v[46:47]
	;; [unrolled: 1-line block ×6, first 2 shown]
	s_waitcnt vmcnt(5)
	v_fma_f64 v[38:39], v[56:57], v[76:77], v[38:39]
	v_fma_f64 v[52:53], v[58:59], v[190:191], v[52:53]
	;; [unrolled: 1-line block ×3, first 2 shown]
	s_waitcnt vmcnt(3)
	v_fma_f64 v[44:45], v[58:59], v[162:163], v[44:45]
	v_fma_f64 v[48:49], v[58:59], v[166:167], v[48:49]
	;; [unrolled: 1-line block ×3, first 2 shown]
	v_dual_mov_b32 v90, v178 :: v_dual_mov_b32 v91, v179
	v_fma_f64 v[38:39], v[58:59], v[168:169], v[38:39]
	v_fma_f64 v[52:53], v[60:61], v[140:141], v[52:53]
	;; [unrolled: 1-line block ×4, first 2 shown]
	s_delay_alu instid0(VALU_DEP_4) | instskip(NEXT) | instid1(VALU_DEP_4)
	v_fma_f64 v[38:39], v[60:61], v[74:75], v[38:39]
	v_fma_f64 v[52:53], v[62:63], v[158:159], v[52:53]
	s_delay_alu instid0(VALU_DEP_2) | instskip(NEXT) | instid1(VALU_DEP_1)
	v_fma_f64 v[38:39], v[62:63], v[176:177], v[38:39]
	v_fma_f64 v[38:39], v[64:65], v[164:165], v[38:39]
	s_delay_alu instid0(VALU_DEP_1) | instskip(NEXT) | instid1(VALU_DEP_1)
	v_fma_f64 v[38:39], v[66:67], v[174:175], v[38:39]
	v_fma_f64 v[38:39], v[68:69], v[18:19], v[38:39]
	v_dual_mov_b32 v18, v102 :: v_dual_mov_b32 v19, v103
	s_waitcnt vmcnt(1)
	v_fma_f64 v[46:47], v[60:61], v[88:89], v[46:47]
	v_dual_mov_b32 v88, v158 :: v_dual_mov_b32 v89, v159
	s_delay_alu instid0(VALU_DEP_2) | instskip(SKIP_2) | instid1(VALU_DEP_1)
	v_fma_f64 v[46:47], v[62:63], v[2:3], v[46:47]
	scratch_load_b64 v[2:3], off, off offset:1264 ; 8-byte Folded Reload
	v_fma_f64 v[46:47], v[64:65], v[152:153], v[46:47]
	v_fma_f64 v[46:47], v[66:67], v[20:21], v[46:47]
	s_delay_alu instid0(VALU_DEP_1)
	v_fma_f64 v[46:47], v[68:69], v[114:115], v[46:47]
	s_waitcnt vmcnt(0)
	v_fma_f64 v[48:49], v[62:63], v[2:3], v[48:49]
	scratch_load_b64 v[2:3], off, off offset:1096 ; 8-byte Folded Reload
	v_fma_f64 v[36:37], v[58:59], v[188:189], v[36:37]
	v_fma_f64 v[48:49], v[64:65], v[4:5], v[48:49]
	scratch_load_b64 v[4:5], off, off offset:848 ; 8-byte Folded Reload
	v_fma_f64 v[36:37], v[60:61], v[104:105], v[36:37]
	v_fma_f64 v[54:55], v[54:55], v[108:109], 0
	;; [unrolled: 1-line block ×3, first 2 shown]
	s_delay_alu instid0(VALU_DEP_2) | instskip(SKIP_1) | instid1(VALU_DEP_3)
	v_fma_f64 v[54:55], v[56:57], v[160:161], v[54:55]
	v_mul_f64 v[56:57], v[34:35], v[38:39]
	v_fma_f64 v[48:49], v[68:69], v[92:93], v[48:49]
	s_delay_alu instid0(VALU_DEP_3)
	v_fma_f64 v[54:55], v[58:59], v[110:111], v[54:55]
	s_waitcnt vmcnt(1)
	v_fma_f64 v[50:51], v[62:63], v[2:3], v[50:51]
	scratch_load_b64 v[2:3], off, off offset:608 ; 8-byte Folded Reload
	s_waitcnt vmcnt(1)
	v_fma_f64 v[50:51], v[64:65], v[4:5], v[50:51]
	s_clause 0x1
	scratch_load_b64 v[4:5], off, off offset:816
	scratch_load_b64 v[86:87], off, off offset:480
	v_fma_f64 v[36:37], v[62:63], v[106:107], v[36:37]
	v_fma_f64 v[50:51], v[66:67], v[12:13], v[50:51]
	s_delay_alu instid0(VALU_DEP_1)
	v_fma_f64 v[50:51], v[68:69], v[16:17], v[50:51]
	s_waitcnt vmcnt(1)
	v_fma_f64 v[52:53], v[64:65], v[4:5], v[52:53]
	scratch_load_b64 v[4:5], off, off offset:272 ; 8-byte Folded Reload
	s_waitcnt vmcnt(1)
	v_fma_f64 v[36:37], v[64:65], v[86:87], v[36:37]
	v_fma_f64 v[52:53], v[66:67], v[0:1], v[52:53]
	s_delay_alu instid0(VALU_DEP_1) | instskip(SKIP_1) | instid1(VALU_DEP_3)
	v_fma_f64 v[52:53], v[68:69], v[22:23], v[52:53]
	s_waitcnt vmcnt(0)
	v_fma_f64 v[36:37], v[66:67], v[4:5], v[36:37]
	scratch_load_b64 v[4:5], off, off offset:464 ; 8-byte Folded Reload
	v_fma_f64 v[54:55], v[60:61], v[2:3], v[54:55]
	v_dual_mov_b32 v2, v20 :: v_dual_mov_b32 v3, v21
	v_dual_mov_b32 v20, v70 :: v_dual_mov_b32 v21, v71
	v_fma_f64 v[36:37], v[68:69], v[24:25], v[36:37]
	s_delay_alu instid0(VALU_DEP_4) | instskip(NEXT) | instid1(VALU_DEP_2)
	v_fma_f64 v[54:55], v[62:63], v[122:123], v[54:55]
	v_mul_f64 v[122:123], v[34:35], v[36:37]
	s_delay_alu instid0(VALU_DEP_2) | instskip(SKIP_1) | instid1(VALU_DEP_1)
	v_fma_f64 v[54:55], v[64:65], v[180:181], v[54:55]
	s_waitcnt vmcnt(0)
	v_fma_f64 v[58:59], v[66:67], v[4:5], v[54:55]
	scratch_load_b64 v[4:5], off, off offset:496 ; 8-byte Folded Reload
	v_fma_f64 v[44:45], v[60:61], v[32:33], v[44:45]
	v_mul_f64 v[54:55], v[34:35], v[48:49]
	v_dual_mov_b32 v32, v180 :: v_dual_mov_b32 v33, v181
	s_delay_alu instid0(VALU_DEP_3) | instskip(SKIP_4) | instid1(VALU_DEP_1)
	v_fma_f64 v[44:45], v[62:63], v[178:179], v[44:45]
	s_clause 0x1
	scratch_load_b64 v[178:179], off, off offset:272
	scratch_load_b64 v[76:77], off, off offset:640
	v_fma_f64 v[44:45], v[64:65], v[182:183], v[44:45]
	v_fma_f64 v[44:45], v[66:67], v[70:71], v[44:45]
	v_mul_f64 v[66:67], v[34:35], v[46:47]
	s_delay_alu instid0(VALU_DEP_2) | instskip(SKIP_2) | instid1(VALU_DEP_3)
	v_fma_f64 v[44:45], v[68:69], v[142:143], v[44:45]
	v_mul_f64 v[142:143], v[34:35], v[50:51]
	v_mul_f64 v[49:50], v[34:35], v[52:53]
	;; [unrolled: 1-line block ×3, first 2 shown]
	s_waitcnt vmcnt(2)
	v_fma_f64 v[36:37], v[68:69], v[4:5], v[58:59]
	s_branch .LBB0_31
.LBB0_29:
                                        ; implicit-def: $vgpr38_vgpr39
	s_branch .LBB0_22
.LBB0_30:
	s_clause 0x11
	scratch_load_b64 v[72:73], off, off offset:288
	scratch_load_b64 v[190:191], off, off offset:904
	;; [unrolled: 1-line block ×18, first 2 shown]
	v_dual_mov_b32 v91, v87 :: v_dual_mov_b32 v90, v86
	s_clause 0xf
	scratch_load_b64 v[136:137], off, off offset:1040
	scratch_load_b64 v[64:65], off, off offset:1048
	;; [unrolled: 1-line block ×16, first 2 shown]
	s_mov_b32 s27, -1
                                        ; implicit-def: $vgpr49_vgpr50
                                        ; implicit-def: $vgpr142_vgpr143
                                        ; implicit-def: $vgpr54_vgpr55
                                        ; implicit-def: $vgpr66_vgpr67
                                        ; implicit-def: $vgpr92_vgpr93
                                        ; implicit-def: $vgpr56_vgpr57
                                        ; implicit-def: $vgpr122_vgpr123
                                        ; implicit-def: $vgpr36_vgpr37
.LBB0_31:
	s_clause 0xb
	scratch_store_b64 off, v[174:175], off offset:1648
	scratch_store_b64 off, v[164:165], off offset:1616
	;; [unrolled: 1-line block ×12, first 2 shown]
	s_clause 0x3
	scratch_load_b128 v[24:27], off, off offset:352
	scratch_load_b128 v[156:159], off, off offset:400
	;; [unrolled: 1-line block ×4, first 2 shown]
	s_and_not1_b32 vcc_lo, exec_lo, s27
	s_cbranch_vccnz .LBB0_33
; %bb.32:
	scratch_load_b64 v[4:5], off, off offset:1448 ; 8-byte Folded Reload
	s_waitcnt vmcnt(5)
	v_mul_f64 v[122:123], v[34:35], v[76:77]
	v_mul_f64 v[56:57], v[34:35], v[136:137]
	;; [unrolled: 1-line block ×6, first 2 shown]
	v_dual_mov_b32 v36, v108 :: v_dual_mov_b32 v37, v109
	s_waitcnt vmcnt(0)
	v_mul_f64 v[49:50], v[34:35], v[4:5]
.LBB0_33:
	s_clause 0x6
	scratch_store_b64 off, v[122:123], off offset:1376
	scratch_store_b64 off, v[56:57], off offset:1384
	;; [unrolled: 1-line block ×7, first 2 shown]
	s_clause 0x3
	scratch_load_b128 v[16:19], off, off offset:32
	scratch_load_b128 v[0:3], off, off offset:48
	;; [unrolled: 1-line block ×4, first 2 shown]
	s_waitcnt vmcnt(4)
	v_dual_mov_b32 v4, v14 :: v_dual_mov_b32 v5, v15
	v_dual_mov_b32 v44, v184 :: v_dual_mov_b32 v45, v185
	;; [unrolled: 1-line block ×3, first 2 shown]
	scratch_store_b64 off, v[4:5], off offset:1320 ; 8-byte Folded Spill
	v_mul_f64 v[68:69], v[34:35], v[36:37]
	s_clause 0x2
	scratch_load_b128 v[32:35], off, off offset:688
	scratch_load_b128 v[152:155], off, off offset:736
	scratch_load_b128 v[178:181], off, off offset:704
	v_dual_mov_b32 v36, v78 :: v_dual_mov_b32 v37, v79
	v_dual_mov_b32 v163, v97 :: v_dual_mov_b32 v162, v96
	;; [unrolled: 1-line block ×21, first 2 shown]
	s_and_not1_b32 vcc_lo, exec_lo, s30
	scratch_load_b128 v[74:77], off, off offset:304 ; 16-byte Folded Reload
	s_waitcnt vmcnt(7)
	v_dual_mov_b32 v4, v16 :: v_dual_mov_b32 v5, v17
	scratch_store_b64 off, v[4:5], off offset:1296 ; 8-byte Folded Spill
	v_dual_mov_b32 v4, v18 :: v_dual_mov_b32 v5, v19
	scratch_store_b64 off, v[4:5], off offset:1216 ; 8-byte Folded Spill
	v_dual_mov_b32 v4, v184 :: v_dual_mov_b32 v5, v185
	scratch_load_b128 v[182:185], off, off offset:432 ; 16-byte Folded Reload
	s_waitcnt vmcnt(3)
	v_dual_mov_b32 v104, v152 :: v_dual_mov_b32 v105, v153
	s_waitcnt vmcnt(2)
	v_dual_mov_b32 v70, v180 :: v_dual_mov_b32 v71, v181
	scratch_store_b64 off, v[4:5], off offset:1184 ; 8-byte Folded Spill
	v_dual_mov_b32 v4, v186 :: v_dual_mov_b32 v5, v187
	scratch_load_b128 v[186:189], off, off offset:448 ; 16-byte Folded Reload
	v_dual_mov_b32 v141, v33 :: v_dual_mov_b32 v140, v32
	scratch_store_b64 off, v[4:5], off offset:1136 ; 8-byte Folded Spill
	v_dual_mov_b32 v5, v1 :: v_dual_mov_b32 v4, v0
	v_dual_mov_b32 v0, v60 :: v_dual_mov_b32 v1, v61
	scratch_store_b64 off, v[0:1], off offset:1192 ; 8-byte Folded Spill
	v_dual_mov_b32 v0, v62 :: v_dual_mov_b32 v1, v63
	scratch_store_b64 off, v[0:1], off offset:1152 ; 8-byte Folded Spill
	;; [unrolled: 2-line block ×6, first 2 shown]
	scratch_load_b128 v[0:3], off, off offset:256 ; 16-byte Folded Reload
	scratch_store_b64 off, v[4:5], off offset:1336 ; 8-byte Folded Spill
	v_dual_mov_b32 v4, v20 :: v_dual_mov_b32 v5, v21
	scratch_store_b64 off, v[4:5], off offset:1304 ; 8-byte Folded Spill
	v_dual_mov_b32 v4, v22 :: v_dual_mov_b32 v5, v23
	scratch_store_b64 off, v[4:5], off offset:1232 ; 8-byte Folded Spill
	s_waitcnt vmcnt(2)
	v_dual_mov_b32 v106, v182 :: v_dual_mov_b32 v107, v183
	s_waitcnt vmcnt(1)
	v_dual_mov_b32 v112, v186 :: v_dual_mov_b32 v113, v187
	v_dual_mov_b32 v120, v188 :: v_dual_mov_b32 v121, v189
	s_waitcnt vmcnt(0)
	v_dual_mov_b32 v5, v1 :: v_dual_mov_b32 v4, v0
	scratch_store_b64 off, v[4:5], off offset:1312 ; 8-byte Folded Spill
	v_dual_mov_b32 v5, v3 :: v_dual_mov_b32 v4, v2
	scratch_store_b64 off, v[4:5], off offset:1256 ; 8-byte Folded Spill
	scratch_load_b128 v[4:7], off, off offset:16 ; 16-byte Folded Reload
	s_waitcnt vmcnt(0)
	scratch_store_b64 off, v[4:5], off offset:1208 ; 8-byte Folded Spill
	v_dual_mov_b32 v4, v6 :: v_dual_mov_b32 v5, v7
	v_dual_mov_b32 v6, v78 :: v_dual_mov_b32 v7, v79
	scratch_store_b64 off, v[6:7], off offset:1288 ; 8-byte Folded Spill
	v_dual_mov_b32 v6, v80 :: v_dual_mov_b32 v7, v81
	scratch_store_b64 off, v[4:5], off offset:1168 ; 8-byte Folded Spill
	v_dual_mov_b32 v4, v132 :: v_dual_mov_b32 v5, v133
	v_dual_mov_b32 v78, v144 :: v_dual_mov_b32 v79, v145
	scratch_store_b64 off, v[6:7], off offset:1248 ; 8-byte Folded Spill
	v_dual_mov_b32 v6, v94 :: v_dual_mov_b32 v7, v95
	;; [unrolled: 5-line block ×4, first 2 shown]
	v_dual_mov_b32 v95, v83 :: v_dual_mov_b32 v94, v82
	v_dual_mov_b32 v147, v43 :: v_dual_mov_b32 v146, v42
	scratch_store_b64 off, v[6:7], off offset:1272 ; 8-byte Folded Spill
	v_dual_mov_b32 v6, v144 :: v_dual_mov_b32 v7, v145
	v_dual_mov_b32 v82, v178 :: v_dual_mov_b32 v83, v179
	scratch_store_b64 off, v[6:7], off offset:1224 ; 8-byte Folded Spill
	v_dual_mov_b32 v6, v154 :: v_dual_mov_b32 v7, v155
	scratch_store_b64 off, v[6:7], off offset:1368 ; 8-byte Folded Spill
	;; [unrolled: 2-line block ×5, first 2 shown]
	v_dual_mov_b32 v6, v184 :: v_dual_mov_b32 v7, v185
	s_cbranch_vccnz .LBB0_35
; %bb.34:
	s_clause 0x5
	scratch_load_b128 v[160:163], off, off offset:544
	scratch_load_b128 v[164:167], off, off offset:560
	;; [unrolled: 1-line block ×6, first 2 shown]
	v_dual_mov_b32 v85, v39 :: v_dual_mov_b32 v84, v38
	v_dual_mov_b32 v83, v37 :: v_dual_mov_b32 v82, v36
	scratch_load_b128 v[144:147], off, off offset:80 ; 16-byte Folded Reload
	s_waitcnt vmcnt(6)
	v_mul_f64 v[4:5], v[122:123], v[160:161]
	v_fma_f64 v[110:111], -v[122:123], v[162:163], v[12:13]
	s_waitcnt vmcnt(5)
	v_fma_f64 v[88:89], -v[122:123], v[164:165], v[28:29]
	s_waitcnt vmcnt(4)
	;; [unrolled: 2-line block ×3, first 2 shown]
	v_fma_f64 v[58:59], -v[122:123], v[172:173], v[156:157]
	v_fma_f64 v[190:191], -v[56:57], v[170:171], v[150:151]
	;; [unrolled: 1-line block ×16, first 2 shown]
	scratch_store_b64 off, v[4:5], off offset:1376 ; 8-byte Folded Spill
	scratch_load_b128 v[4:7], off, off offset:64 ; 16-byte Folded Reload
	s_waitcnt vmcnt(1)
	v_dual_mov_b32 v147, v52 :: v_dual_mov_b32 v146, v51
	v_dual_mov_b32 v52, v70 :: v_dual_mov_b32 v53, v71
	v_fma_f64 v[70:71], -v[68:69], v[174:175], v[180:181]
	s_waitcnt vmcnt(0)
	v_fma_f64 v[64:65], -v[122:123], v[166:167], v[4:5]
	v_mul_f64 v[4:5], v[56:57], v[160:161]
	scratch_store_b64 off, v[4:5], off offset:1384 ; 8-byte Folded Spill
	v_fma_f64 v[4:5], -v[56:57], v[162:163], v[14:15]
	scratch_store_b64 off, v[4:5], off offset:1320 ; 8-byte Folded Spill
	v_fma_f64 v[4:5], -v[56:57], v[164:165], v[30:31]
	scratch_store_b64 off, v[4:5], off offset:1336 ; 8-byte Folded Spill
	scratch_load_b128 v[4:7], off, off offset:64 ; 16-byte Folded Reload
	s_waitcnt vmcnt(0)
	v_mul_f64 v[4:5], v[92:93], v[160:161]
	scratch_store_b64 off, v[4:5], off offset:1392 ; 8-byte Folded Spill
	v_fma_f64 v[4:5], -v[92:93], v[162:163], v[16:17]
	scratch_store_b64 off, v[4:5], off offset:1296 ; 8-byte Folded Spill
	v_fma_f64 v[4:5], -v[92:93], v[164:165], v[20:21]
	;; [unrolled: 2-line block ×3, first 2 shown]
	scratch_store_b64 off, v[4:5], off offset:1312 ; 8-byte Folded Spill
	v_mul_f64 v[4:5], v[66:67], v[160:161]
	scratch_store_b64 off, v[4:5], off offset:1400 ; 8-byte Folded Spill
	v_fma_f64 v[4:5], -v[66:67], v[162:163], v[18:19]
	scratch_store_b64 off, v[4:5], off offset:1216 ; 8-byte Folded Spill
	v_fma_f64 v[4:5], -v[66:67], v[164:165], v[22:23]
	;; [unrolled: 2-line block ×4, first 2 shown]
	v_fma_f64 v[90:91], -v[56:57], v[166:167], v[6:7]
	v_fma_f64 v[6:7], -v[66:67], v[174:175], v[184:185]
	scratch_store_b64 off, v[4:5], off offset:1360 ; 8-byte Folded Spill
	v_fma_f64 v[4:5], -v[66:67], v[172:173], v[154:155]
	scratch_store_b64 off, v[4:5], off offset:1368 ; 8-byte Folded Spill
	v_mul_f64 v[4:5], v[54:55], v[160:161]
	scratch_store_b64 off, v[4:5], off offset:1408 ; 8-byte Folded Spill
	v_fma_f64 v[4:5], -v[54:55], v[162:163], v[44:45]
	scratch_store_b64 off, v[4:5], off offset:1184 ; 8-byte Folded Spill
	v_fma_f64 v[4:5], -v[54:55], v[164:165], v[60:61]
	;; [unrolled: 2-line block ×6, first 2 shown]
	scratch_store_b64 off, v[4:5], off offset:1344 ; 8-byte Folded Spill
	v_mul_f64 v[4:5], v[142:143], v[160:161]
	scratch_store_b64 off, v[4:5], off offset:1416 ; 8-byte Folded Spill
	v_fma_f64 v[4:5], -v[142:143], v[162:163], v[46:47]
	scratch_store_b64 off, v[4:5], off offset:1136 ; 8-byte Folded Spill
	v_fma_f64 v[4:5], -v[142:143], v[164:165], v[62:63]
	;; [unrolled: 2-line block ×4, first 2 shown]
	v_dual_mov_b32 v82, v94 :: v_dual_mov_b32 v83, v95
	v_dual_mov_b32 v84, v96 :: v_dual_mov_b32 v85, v97
	scratch_store_b64 off, v[4:5], off offset:1248 ; 8-byte Folded Spill
	v_fma_f64 v[4:5], -v[142:143], v[170:171], v[118:119]
	scratch_store_b64 off, v[4:5], off offset:1272 ; 8-byte Folded Spill
	v_fma_f64 v[4:5], -v[142:143], v[172:173], v[76:77]
	scratch_store_b64 off, v[4:5], off offset:1280 ; 8-byte Folded Spill
	v_mul_f64 v[4:5], v[49:50], v[160:161]
	scratch_store_b64 off, v[4:5], off offset:1424 ; 8-byte Folded Spill
	v_fma_f64 v[4:5], -v[49:50], v[162:163], v[136:137]
	scratch_store_b64 off, v[4:5], off offset:832 ; 8-byte Folded Spill
	v_fma_f64 v[4:5], -v[49:50], v[164:165], v[82:83]
	v_fma_f64 v[82:83], -v[49:50], v[174:175], v[178:179]
	scratch_store_b64 off, v[4:5], off offset:1104 ; 8-byte Folded Spill
	v_fma_f64 v[4:5], -v[49:50], v[166:167], v[132:133]
	scratch_store_b64 off, v[4:5], off offset:1120 ; 8-byte Folded Spill
	v_fma_f64 v[4:5], -v[49:50], v[168:169], v[144:145]
	scratch_store_b64 off, v[4:5], off offset:1200 ; 8-byte Folded Spill
	v_fma_f64 v[4:5], -v[49:50], v[170:171], v[78:79]
	scratch_store_b64 off, v[4:5], off offset:1224 ; 8-byte Folded Spill
	v_fma_f64 v[4:5], -v[49:50], v[172:173], v[8:9]
	v_fma_f64 v[8:9], -v[68:69], v[162:163], v[138:139]
	scratch_store_b64 off, v[8:9], off offset:752 ; 8-byte Folded Spill
	v_fma_f64 v[8:9], -v[68:69], v[164:165], v[84:85]
	scratch_store_b64 off, v[4:5], off offset:1240 ; 8-byte Folded Spill
	v_mul_f64 v[4:5], v[68:69], v[160:161]
	scratch_load_b128 v[160:163], off, off offset:80 ; 16-byte Folded Reload
	v_fma_f64 v[164:165], -v[68:69], v[170:171], v[80:81]
	scratch_load_b128 v[170:173], off, off offset:64 ; 16-byte Folded Reload
	scratch_store_b64 off, v[8:9], off offset:720 ; 8-byte Folded Spill
	s_waitcnt vmcnt(1)
	v_fma_f64 v[166:167], -v[68:69], v[168:169], v[162:163]
.LBB0_35:
	s_clause 0x4
	scratch_store_b64 off, v[166:167], off offset:1696
	scratch_store_b64 off, v[72:73], off offset:1688
	;; [unrolled: 1-line block ×5, first 2 shown]
	v_dual_mov_b32 v177, v163 :: v_dual_mov_b32 v176, v162
	v_dual_mov_b32 v175, v161 :: v_dual_mov_b32 v174, v160
	;; [unrolled: 1-line block ×8, first 2 shown]
	s_waitcnt vmcnt(0)
	v_dual_mov_b32 v132, v170 :: v_dual_mov_b32 v133, v171
	v_dual_mov_b32 v119, v77 :: v_dual_mov_b32 v118, v76
	;; [unrolled: 1-line block ×4, first 2 shown]
	scratch_load_b128 v[170:173], off, off offset:336 ; 16-byte Folded Reload
	v_dual_mov_b32 v117, v75 :: v_dual_mov_b32 v116, v74
	v_dual_mov_b32 v165, v79 :: v_dual_mov_b32 v164, v78
	;; [unrolled: 1-line block ×3, first 2 shown]
	s_clause 0x3
	scratch_load_b128 v[70:73], off, off offset:144
	scratch_load_b128 v[74:77], off, off offset:160
	;; [unrolled: 1-line block ×4, first 2 shown]
	s_mov_b32 m0, s31
	s_add_i32 s29, s29, 1
	s_delay_alu instid0(SALU_CYCLE_1) | instskip(SKIP_2) | instid1(VALU_DEP_1)
	s_cmp_eq_u32 s28, s29
	s_waitcnt vmcnt(3)
	v_fma_f64 v[144:145], v[70:71], v[170:171], 0
	v_fma_f64 v[144:145], v[72:73], v[12:13], v[144:145]
	s_waitcnt vmcnt(2)
	s_delay_alu instid0(VALU_DEP_1) | instskip(NEXT) | instid1(VALU_DEP_1)
	v_fma_f64 v[144:145], v[74:75], v[28:29], v[144:145]
	v_fma_f64 v[144:145], v[76:77], v[132:133], v[144:145]
	s_waitcnt vmcnt(1)
	s_delay_alu instid0(VALU_DEP_1) | instskip(NEXT) | instid1(VALU_DEP_1)
	v_fma_f64 v[144:145], v[78:79], v[160:161], v[144:145]
	v_fma_f64 v[144:145], v[80:81], v[148:149], v[144:145]
	;; [unrolled: 1-line block ×3, first 2 shown]
	s_waitcnt vmcnt(0)
	s_delay_alu instid0(VALU_DEP_2) | instskip(NEXT) | instid1(VALU_DEP_2)
	v_fma_f64 v[144:145], v[82:83], v[156:157], v[144:145]
	v_fma_f64 v[148:149], v[72:73], v[14:15], v[148:149]
	v_dual_mov_b32 v12, v124 :: v_dual_mov_b32 v13, v125
	v_dual_mov_b32 v14, v126 :: v_dual_mov_b32 v15, v127
	s_clause 0x1
	scratch_load_b128 v[124:127], off, off offset:48
	scratch_load_b128 v[136:139], off, off offset:320
	v_fma_f64 v[144:145], v[84:85], v[186:187], v[144:145]
	v_fma_f64 v[148:149], v[74:75], v[30:31], v[148:149]
	s_delay_alu instid0(VALU_DEP_1) | instskip(NEXT) | instid1(VALU_DEP_1)
	v_fma_f64 v[148:149], v[76:77], v[134:135], v[148:149]
	v_fma_f64 v[148:149], v[78:79], v[162:163], v[148:149]
	s_delay_alu instid0(VALU_DEP_1) | instskip(NEXT) | instid1(VALU_DEP_1)
	v_fma_f64 v[148:149], v[80:81], v[150:151], v[148:149]
	v_fma_f64 v[148:149], v[82:83], v[158:159], v[148:149]
	s_delay_alu instid0(VALU_DEP_1) | instskip(SKIP_2) | instid1(VALU_DEP_1)
	v_fma_f64 v[148:149], v[84:85], v[188:189], v[148:149]
	s_waitcnt vmcnt(0)
	v_fma_f64 v[150:151], v[70:71], v[136:137], 0
	v_fma_f64 v[150:151], v[72:73], v[16:17], v[150:151]
	s_delay_alu instid0(VALU_DEP_1) | instskip(NEXT) | instid1(VALU_DEP_1)
	v_fma_f64 v[150:151], v[74:75], v[20:21], v[150:151]
	v_fma_f64 v[150:151], v[76:77], v[0:1], v[150:151]
	s_delay_alu instid0(VALU_DEP_1) | instskip(NEXT) | instid1(VALU_DEP_1)
	v_fma_f64 v[150:151], v[78:79], v[32:33], v[150:151]
	v_fma_f64 v[150:151], v[80:81], v[12:13], v[150:151]
	s_delay_alu instid0(VALU_DEP_1) | instskip(SKIP_1) | instid1(VALU_DEP_2)
	v_fma_f64 v[150:151], v[82:83], v[152:153], v[150:151]
	v_fma_f64 v[152:153], v[70:71], v[138:139], 0
	;; [unrolled: 1-line block ×3, first 2 shown]
	s_delay_alu instid0(VALU_DEP_2) | instskip(NEXT) | instid1(VALU_DEP_1)
	v_fma_f64 v[152:153], v[72:73], v[18:19], v[152:153]
	v_fma_f64 v[152:153], v[74:75], v[22:23], v[152:153]
	s_delay_alu instid0(VALU_DEP_1) | instskip(SKIP_4) | instid1(VALU_DEP_1)
	v_fma_f64 v[152:153], v[76:77], v[2:3], v[152:153]
	scratch_load_b128 v[0:3], off, off offset:16 ; 16-byte Folded Reload
	v_fma_f64 v[152:153], v[78:79], v[34:35], v[152:153]
	scratch_load_b128 v[32:35], off, off offset:224 ; 16-byte Folded Reload
	v_fma_f64 v[152:153], v[80:81], v[14:15], v[152:153]
	v_fma_f64 v[152:153], v[82:83], v[154:155], v[152:153]
	s_delay_alu instid0(VALU_DEP_1) | instskip(SKIP_3) | instid1(VALU_DEP_2)
	v_fma_f64 v[152:153], v[84:85], v[184:185], v[152:153]
	s_waitcnt vmcnt(0)
	v_fma_f64 v[154:155], v[70:71], v[32:33], 0
	v_fma_f64 v[156:157], v[70:71], v[34:35], 0
	v_fma_f64 v[154:155], v[72:73], v[44:45], v[154:155]
	s_delay_alu instid0(VALU_DEP_2) | instskip(NEXT) | instid1(VALU_DEP_2)
	v_fma_f64 v[156:157], v[72:73], v[46:47], v[156:157]
	v_fma_f64 v[154:155], v[74:75], v[60:61], v[154:155]
	s_delay_alu instid0(VALU_DEP_2) | instskip(SKIP_2) | instid1(VALU_DEP_4)
	v_fma_f64 v[156:157], v[74:75], v[62:63], v[156:157]
	v_dual_mov_b32 v62, v59 :: v_dual_mov_b32 v61, v58
	v_dual_mov_b32 v59, v112 :: v_dual_mov_b32 v60, v113
	v_fma_f64 v[154:155], v[76:77], v[0:1], v[154:155]
	s_delay_alu instid0(VALU_DEP_4)
	v_fma_f64 v[156:157], v[76:77], v[2:3], v[156:157]
	scratch_load_b128 v[0:3], off, off offset:384 ; 16-byte Folded Reload
	v_fma_f64 v[154:155], v[78:79], v[36:37], v[154:155]
	v_fma_f64 v[156:157], v[78:79], v[38:39], v[156:157]
	v_dual_mov_b32 v38, v64 :: v_dual_mov_b32 v39, v65
	v_dual_mov_b32 v36, v140 :: v_dual_mov_b32 v37, v141
	s_delay_alu instid0(VALU_DEP_4) | instskip(NEXT) | instid1(VALU_DEP_4)
	v_fma_f64 v[154:155], v[80:81], v[8:9], v[154:155]
	v_fma_f64 v[156:157], v[80:81], v[10:11], v[156:157]
	s_delay_alu instid0(VALU_DEP_2) | instskip(NEXT) | instid1(VALU_DEP_2)
	v_fma_f64 v[154:155], v[82:83], v[116:117], v[154:155]
	v_fma_f64 v[156:157], v[82:83], v[118:119], v[156:157]
	s_delay_alu instid0(VALU_DEP_2) | instskip(NEXT) | instid1(VALU_DEP_2)
	v_fma_f64 v[154:155], v[84:85], v[40:41], v[154:155]
	v_fma_f64 v[156:157], v[84:85], v[42:43], v[156:157]
	scratch_load_b128 v[40:43], off, off offset:656 ; 16-byte Folded Reload
	s_waitcnt vmcnt(0)
	v_fma_f64 v[158:159], v[70:71], v[40:41], 0
	v_fma_f64 v[16:17], v[70:71], v[42:43], 0
	v_dual_mov_b32 v71, v53 :: v_dual_mov_b32 v70, v52
	v_add_f64 v[4:5], v[42:43], -v[4:5]
	v_dual_mov_b32 v42, v190 :: v_dual_mov_b32 v43, v191
	v_fma_f64 v[158:159], v[72:73], v[124:125], v[158:159]
	v_fma_f64 v[16:17], v[72:73], v[126:127], v[16:17]
	s_delay_alu instid0(VALU_DEP_2) | instskip(NEXT) | instid1(VALU_DEP_2)
	v_fma_f64 v[158:159], v[74:75], v[94:95], v[158:159]
	v_fma_f64 v[16:17], v[74:75], v[96:97], v[16:17]
	s_delay_alu instid0(VALU_DEP_2) | instskip(NEXT) | instid1(VALU_DEP_2)
	;; [unrolled: 3-line block ×4, first 2 shown]
	v_fma_f64 v[158:159], v[80:81], v[164:165], v[158:159]
	v_fma_f64 v[16:17], v[80:81], v[166:167], v[16:17]
	s_delay_alu instid0(VALU_DEP_2) | instskip(SKIP_4) | instid1(VALU_DEP_3)
	v_fma_f64 v[158:159], v[82:83], v[0:1], v[158:159]
	scratch_load_b64 v[0:1], off, off offset:1536 ; 8-byte Folded Reload
	v_fma_f64 v[16:17], v[82:83], v[2:3], v[16:17]
	v_dual_mov_b32 v2, v168 :: v_dual_mov_b32 v3, v169
	v_fma_f64 v[158:159], v[84:85], v[178:179], v[158:159]
	v_fma_f64 v[30:31], v[84:85], v[180:181], v[16:17]
	s_waitcnt vmcnt(0)
	v_fma_f64 v[8:9], v[0:1], v[122:123], v[144:145]
	v_fma_f64 v[10:11], v[0:1], v[56:57], v[148:149]
	;; [unrolled: 1-line block ×8, first 2 shown]
	scratch_load_b64 v[0:1], off, off offset:1456 ; 8-byte Folded Reload
	v_dual_mov_b32 v67, v7 :: v_dual_mov_b32 v66, v6
	v_dual_mov_b32 v6, v88 :: v_dual_mov_b32 v7, v89
	v_dual_mov_b32 v55, v114 :: v_dual_mov_b32 v56, v115
	v_dual_mov_b32 v68, v146 :: v_dual_mov_b32 v69, v147
	v_movrels_b32_e32 v50, v9
	v_movrels_b32_e32 v49, v8
	s_waitcnt vmcnt(0)
	s_delay_alu instid0(VALU_DEP_1) | instskip(NEXT) | instid1(VALU_DEP_1)
	v_add_f64 v[49:50], v[0:1], v[49:50]
	v_movreld_b32_e32 v8, v49
	s_delay_alu instid0(VALU_DEP_2)
	v_movreld_b32_e32 v9, v50
	s_clause 0x3
	scratch_store_b128 off, v[8:11], off offset:144
	scratch_store_b128 off, v[12:15], off offset:160
	;; [unrolled: 1-line block ×4, first 2 shown]
	s_clause 0x9
	scratch_load_b64 v[0:1], off, off offset:1424
	scratch_load_b64 v[14:15], off, off offset:640
	;; [unrolled: 1-line block ×10, first 2 shown]
	v_dual_mov_b32 v48, v100 :: v_dual_mov_b32 v49, v101
	s_clause 0x8
	scratch_load_b64 v[100:101], off, off offset:1304
	scratch_load_b64 v[44:45], off, off offset:1312
	;; [unrolled: 1-line block ×9, first 2 shown]
	v_dual_mov_b32 v50, v120 :: v_dual_mov_b32 v51, v121
	s_clause 0x11
	scratch_load_b64 v[144:145], off, off offset:1232
	scratch_load_b64 v[120:121], off, off offset:1248
	;; [unrolled: 1-line block ×18, first 2 shown]
	s_waitcnt vmcnt(36)
	v_add_f64 v[80:81], v[40:41], -v[0:1]
	scratch_load_b64 v[0:1], off, off offset:1416 ; 8-byte Folded Reload
	v_dual_mov_b32 v40, v108 :: v_dual_mov_b32 v41, v109
	s_clause 0x1
	scratch_load_b64 v[108:109], off, off offset:1344
	scratch_load_b64 v[114:115], off, off offset:1328
	s_waitcnt vmcnt(2)
	v_add_f64 v[82:83], v[34:35], -v[0:1]
	scratch_load_b64 v[0:1], off, off offset:1408 ; 8-byte Folded Reload
	s_waitcnt vmcnt(0)
	v_add_f64 v[84:85], v[32:33], -v[0:1]
	scratch_load_b64 v[0:1], off, off offset:1400 ; 8-byte Folded Reload
	s_waitcnt vmcnt(0)
	v_add_f64 v[92:93], v[138:139], -v[0:1]
	s_clause 0x1
	scratch_load_b64 v[0:1], off, off offset:1392
	scratch_load_b64 v[138:139], off, off offset:1104
	s_waitcnt vmcnt(1)
	v_add_f64 v[94:95], v[136:137], -v[0:1]
	s_clause 0x1
	scratch_load_b64 v[0:1], off, off offset:1384
	scratch_load_b64 v[136:137], off, off offset:832
	s_waitcnt vmcnt(1)
	v_add_f64 v[74:75], v[172:173], -v[0:1]
	scratch_load_b64 v[0:1], off, off offset:1376 ; 8-byte Folded Reload
	s_waitcnt vmcnt(0)
	v_add_f64 v[72:73], v[170:171], -v[0:1]
	s_clause 0x1
	scratch_load_b64 v[170:171], off, off offset:1152
	scratch_load_b64 v[142:143], off, off offset:1120
	v_fma_f64 v[34:35], v[14:15], v[72:73], 0
	s_delay_alu instid0(VALU_DEP_1) | instskip(NEXT) | instid1(VALU_DEP_1)
	v_fma_f64 v[34:35], v[16:17], v[110:111], v[34:35]
	v_fma_f64 v[34:35], v[20:21], v[6:7], v[34:35]
	s_delay_alu instid0(VALU_DEP_1) | instskip(NEXT) | instid1(VALU_DEP_1)
	v_fma_f64 v[34:35], v[22:23], v[38:39], v[34:35]
	v_fma_f64 v[34:35], v[24:25], v[52:53], v[34:35]
	scratch_load_b64 v[53:54], off, off offset:1320 ; 8-byte Folded Reload
	v_fma_f64 v[34:35], v[26:27], v[55:56], v[34:35]
	s_delay_alu instid0(VALU_DEP_1) | instskip(NEXT) | instid1(VALU_DEP_1)
	v_fma_f64 v[34:35], v[30:31], v[61:62], v[34:35]
	v_fma_f64 v[0:1], v[76:77], v[59:60], v[34:35]
	;; [unrolled: 1-line block ×3, first 2 shown]
	scratch_store_b64 off, v[0:1], off offset:1392 ; 8-byte Folded Spill
	s_waitcnt vmcnt(0)
	v_fma_f64 v[34:35], v[16:17], v[53:54], v[34:35]
	s_delay_alu instid0(VALU_DEP_1) | instskip(NEXT) | instid1(VALU_DEP_1)
	v_fma_f64 v[34:35], v[20:21], v[112:113], v[34:35]
	v_fma_f64 v[34:35], v[22:23], v[90:91], v[34:35]
	s_delay_alu instid0(VALU_DEP_1) | instskip(NEXT) | instid1(VALU_DEP_1)
	v_fma_f64 v[34:35], v[24:25], v[40:41], v[34:35]
	v_fma_f64 v[34:35], v[26:27], v[42:43], v[34:35]
	s_delay_alu instid0(VALU_DEP_1) | instskip(NEXT) | instid1(VALU_DEP_1)
	v_fma_f64 v[34:35], v[30:31], v[48:49], v[34:35]
	v_fma_f64 v[0:1], v[76:77], v[50:51], v[34:35]
	v_fma_f64 v[34:35], v[14:15], v[94:95], 0
	scratch_store_b64 off, v[0:1], off offset:1400 ; 8-byte Folded Spill
	v_fma_f64 v[34:35], v[16:17], v[190:191], v[34:35]
	s_delay_alu instid0(VALU_DEP_1) | instskip(NEXT) | instid1(VALU_DEP_1)
	v_fma_f64 v[34:35], v[20:21], v[100:101], v[34:35]
	v_fma_f64 v[34:35], v[22:23], v[44:45], v[34:35]
	s_delay_alu instid0(VALU_DEP_1) | instskip(NEXT) | instid1(VALU_DEP_1)
	v_fma_f64 v[34:35], v[24:25], v[36:37], v[34:35]
	v_fma_f64 v[34:35], v[26:27], v[102:103], v[34:35]
	s_delay_alu instid0(VALU_DEP_1) | instskip(NEXT) | instid1(VALU_DEP_1)
	v_fma_f64 v[34:35], v[30:31], v[104:105], v[34:35]
	v_fma_f64 v[0:1], v[76:77], v[106:107], v[34:35]
	v_fma_f64 v[34:35], v[14:15], v[92:93], 0
	scratch_store_b64 off, v[0:1], off offset:1408 ; 8-byte Folded Spill
	;; [unrolled: 12-line block ×4, first 2 shown]
	v_fma_f64 v[34:35], v[16:17], v[126:127], v[34:35]
	s_delay_alu instid0(VALU_DEP_1) | instskip(NEXT) | instid1(VALU_DEP_1)
	v_fma_f64 v[34:35], v[20:21], v[170:171], v[34:35]
	v_fma_f64 v[34:35], v[22:23], v[176:177], v[34:35]
	s_delay_alu instid0(VALU_DEP_1) | instskip(NEXT) | instid1(VALU_DEP_1)
	v_fma_f64 v[34:35], v[24:25], v[120:121], v[34:35]
	;; [unrolled: 3-line block ×3, first 2 shown]
	v_fma_f64 v[0:1], v[76:77], v[146:147], v[34:35]
	scratch_load_b64 v[146:147], off, off offset:1240 ; 8-byte Folded Reload
	v_fma_f64 v[34:35], v[14:15], v[80:81], 0
	scratch_store_b64 off, v[0:1], off offset:1384 ; 8-byte Folded Spill
	v_fma_f64 v[34:35], v[16:17], v[136:137], v[34:35]
	s_delay_alu instid0(VALU_DEP_1) | instskip(NEXT) | instid1(VALU_DEP_1)
	v_fma_f64 v[34:35], v[20:21], v[138:139], v[34:35]
	v_fma_f64 v[34:35], v[22:23], v[142:143], v[34:35]
	s_delay_alu instid0(VALU_DEP_1) | instskip(NEXT) | instid1(VALU_DEP_1)
	v_fma_f64 v[34:35], v[24:25], v[182:183], v[34:35]
	v_fma_f64 v[34:35], v[26:27], v[188:189], v[34:35]
	s_waitcnt vmcnt(0)
	s_delay_alu instid0(VALU_DEP_1) | instskip(NEXT) | instid1(VALU_DEP_1)
	v_fma_f64 v[34:35], v[30:31], v[146:147], v[34:35]
	v_fma_f64 v[0:1], v[76:77], v[2:3], v[34:35]
	;; [unrolled: 1-line block ×3, first 2 shown]
	s_clause 0x1
	scratch_load_b64 v[14:15], off, off offset:1056
	scratch_load_b64 v[8:9], off, off offset:1024
	scratch_store_b64 off, v[0:1], off offset:1376 ; 8-byte Folded Spill
	v_fma_f64 v[34:35], v[16:17], v[132:133], v[34:35]
	scratch_load_b64 v[16:17], off, off offset:1064 ; 8-byte Folded Reload
	v_fma_f64 v[34:35], v[20:21], v[116:117], v[34:35]
	scratch_load_b64 v[20:21], off, off offset:512 ; 8-byte Folded Reload
	;; [unrolled: 2-line block ×5, first 2 shown]
	v_dual_mov_b32 v35, v3 :: v_dual_mov_b32 v34, v2
	s_waitcnt vmcnt(1)
	v_fma_f64 v[32:33], v[30:31], v[24:25], v[32:33]
	scratch_load_b64 v[30:31], off, off offset:1656 ; 8-byte Folded Reload
	v_fma_f64 v[156:157], v[76:77], v[168:169], v[32:33]
	v_fma_f64 v[32:33], v[10:11], v[72:73], 0
	v_dual_mov_b32 v77, v5 :: v_dual_mov_b32 v76, v4
	s_delay_alu instid0(VALU_DEP_2) | instskip(NEXT) | instid1(VALU_DEP_1)
	v_fma_f64 v[32:33], v[12:13], v[110:111], v[32:33]
	v_fma_f64 v[32:33], v[14:15], v[6:7], v[32:33]
	s_delay_alu instid0(VALU_DEP_1) | instskip(NEXT) | instid1(VALU_DEP_1)
	v_fma_f64 v[32:33], v[16:17], v[38:39], v[32:33]
	v_fma_f64 v[32:33], v[20:21], v[70:71], v[32:33]
	s_delay_alu instid0(VALU_DEP_1) | instskip(SKIP_1) | instid1(VALU_DEP_1)
	v_fma_f64 v[32:33], v[22:23], v[55:56], v[32:33]
	s_waitcnt vmcnt(1)
	v_fma_f64 v[32:33], v[26:27], v[61:62], v[32:33]
	s_waitcnt vmcnt(0)
	s_delay_alu instid0(VALU_DEP_1) | instskip(SKIP_3) | instid1(VALU_DEP_1)
	v_fma_f64 v[0:1], v[30:31], v[59:60], v[32:33]
	v_fma_f64 v[32:33], v[10:11], v[74:75], 0
	scratch_store_b64 off, v[0:1], off offset:1072 ; 8-byte Folded Spill
	v_fma_f64 v[32:33], v[12:13], v[53:54], v[32:33]
	v_fma_f64 v[32:33], v[14:15], v[112:113], v[32:33]
	s_delay_alu instid0(VALU_DEP_1) | instskip(NEXT) | instid1(VALU_DEP_1)
	v_fma_f64 v[32:33], v[16:17], v[90:91], v[32:33]
	v_fma_f64 v[32:33], v[20:21], v[40:41], v[32:33]
	s_delay_alu instid0(VALU_DEP_1) | instskip(NEXT) | instid1(VALU_DEP_1)
	v_fma_f64 v[32:33], v[22:23], v[42:43], v[32:33]
	v_fma_f64 v[32:33], v[26:27], v[48:49], v[32:33]
	s_delay_alu instid0(VALU_DEP_1) | instskip(SKIP_3) | instid1(VALU_DEP_1)
	v_fma_f64 v[0:1], v[30:31], v[50:51], v[32:33]
	v_fma_f64 v[32:33], v[10:11], v[94:95], 0
	scratch_store_b64 off, v[0:1], off offset:1088 ; 8-byte Folded Spill
	v_fma_f64 v[32:33], v[12:13], v[190:191], v[32:33]
	v_fma_f64 v[32:33], v[14:15], v[100:101], v[32:33]
	s_delay_alu instid0(VALU_DEP_1) | instskip(NEXT) | instid1(VALU_DEP_1)
	v_fma_f64 v[32:33], v[16:17], v[44:45], v[32:33]
	v_fma_f64 v[32:33], v[20:21], v[36:37], v[32:33]
	s_delay_alu instid0(VALU_DEP_1) | instskip(NEXT) | instid1(VALU_DEP_1)
	v_fma_f64 v[32:33], v[22:23], v[102:103], v[32:33]
	v_fma_f64 v[32:33], v[26:27], v[104:105], v[32:33]
	;; [unrolled: 12-line block ×4, first 2 shown]
	s_delay_alu instid0(VALU_DEP_1) | instskip(SKIP_1) | instid1(VALU_DEP_1)
	v_fma_f64 v[150:151], v[30:31], v[86:87], v[32:33]
	v_fma_f64 v[32:33], v[10:11], v[82:83], 0
	;; [unrolled: 1-line block ×3, first 2 shown]
	s_delay_alu instid0(VALU_DEP_1) | instskip(NEXT) | instid1(VALU_DEP_1)
	v_fma_f64 v[32:33], v[14:15], v[170:171], v[32:33]
	v_fma_f64 v[32:33], v[16:17], v[176:177], v[32:33]
	s_delay_alu instid0(VALU_DEP_1) | instskip(NEXT) | instid1(VALU_DEP_1)
	v_fma_f64 v[32:33], v[20:21], v[120:121], v[32:33]
	v_fma_f64 v[32:33], v[22:23], v[140:141], v[32:33]
	s_delay_alu instid0(VALU_DEP_1) | instskip(NEXT) | instid1(VALU_DEP_1)
	v_fma_f64 v[32:33], v[26:27], v[64:65], v[32:33]
	v_fma_f64 v[152:153], v[30:31], v[68:69], v[32:33]
	v_fma_f64 v[32:33], v[10:11], v[80:81], 0
	s_delay_alu instid0(VALU_DEP_1) | instskip(NEXT) | instid1(VALU_DEP_1)
	v_fma_f64 v[32:33], v[12:13], v[136:137], v[32:33]
	v_fma_f64 v[32:33], v[14:15], v[138:139], v[32:33]
	s_delay_alu instid0(VALU_DEP_1) | instskip(NEXT) | instid1(VALU_DEP_1)
	v_fma_f64 v[32:33], v[16:17], v[142:143], v[32:33]
	;; [unrolled: 3-line block ×3, first 2 shown]
	v_fma_f64 v[32:33], v[26:27], v[146:147], v[32:33]
	s_delay_alu instid0(VALU_DEP_1)
	v_fma_f64 v[154:155], v[30:31], v[2:3], v[32:33]
	scratch_load_b64 v[2:3], off, off offset:1008 ; 8-byte Folded Reload
	v_fma_f64 v[32:33], v[10:11], v[4:5], 0
	s_clause 0x1
	scratch_load_b64 v[4:5], off, off offset:1016
	scratch_load_b64 v[10:11], off, off offset:1032
	v_fma_f64 v[32:33], v[12:13], v[132:133], v[32:33]
	scratch_load_b64 v[12:13], off, off offset:1600 ; 8-byte Folded Reload
	v_fma_f64 v[32:33], v[14:15], v[116:117], v[32:33]
	scratch_load_b64 v[14:15], off, off offset:1608 ; 8-byte Folded Reload
	;; [unrolled: 2-line block ×6, first 2 shown]
	v_fma_f64 v[158:159], v[30:31], v[168:169], v[32:33]
	s_waitcnt vmcnt(8)
	v_fma_f64 v[32:33], v[2:3], v[72:73], 0
	s_waitcnt vmcnt(7)
	s_delay_alu instid0(VALU_DEP_1) | instskip(NEXT) | instid1(VALU_DEP_1)
	v_fma_f64 v[32:33], v[4:5], v[110:111], v[32:33]
	v_fma_f64 v[32:33], v[8:9], v[6:7], v[32:33]
	s_waitcnt vmcnt(6)
	s_delay_alu instid0(VALU_DEP_1) | instskip(SKIP_1) | instid1(VALU_DEP_1)
	v_fma_f64 v[32:33], v[10:11], v[38:39], v[32:33]
	s_waitcnt vmcnt(5)
	v_fma_f64 v[32:33], v[12:13], v[70:71], v[32:33]
	s_waitcnt vmcnt(4)
	s_delay_alu instid0(VALU_DEP_1) | instskip(SKIP_1) | instid1(VALU_DEP_1)
	v_fma_f64 v[32:33], v[14:15], v[55:56], v[32:33]
	s_waitcnt vmcnt(3)
	v_fma_f64 v[32:33], v[16:17], v[61:62], v[32:33]
	s_waitcnt vmcnt(2)
	s_delay_alu instid0(VALU_DEP_1) | instskip(SKIP_3) | instid1(VALU_DEP_1)
	v_fma_f64 v[0:1], v[20:21], v[59:60], v[32:33]
	v_fma_f64 v[32:33], v[2:3], v[74:75], 0
	scratch_store_b64 off, v[0:1], off offset:1616 ; 8-byte Folded Spill
	v_fma_f64 v[32:33], v[4:5], v[53:54], v[32:33]
	v_fma_f64 v[32:33], v[8:9], v[112:113], v[32:33]
	s_delay_alu instid0(VALU_DEP_1) | instskip(NEXT) | instid1(VALU_DEP_1)
	v_fma_f64 v[32:33], v[10:11], v[90:91], v[32:33]
	v_fma_f64 v[32:33], v[12:13], v[40:41], v[32:33]
	s_delay_alu instid0(VALU_DEP_1) | instskip(NEXT) | instid1(VALU_DEP_1)
	v_fma_f64 v[32:33], v[14:15], v[42:43], v[32:33]
	v_fma_f64 v[32:33], v[16:17], v[48:49], v[32:33]
	s_delay_alu instid0(VALU_DEP_1) | instskip(SKIP_1) | instid1(VALU_DEP_1)
	v_fma_f64 v[160:161], v[20:21], v[50:51], v[32:33]
	v_fma_f64 v[32:33], v[2:3], v[94:95], 0
	;; [unrolled: 1-line block ×3, first 2 shown]
	s_delay_alu instid0(VALU_DEP_1) | instskip(NEXT) | instid1(VALU_DEP_1)
	v_fma_f64 v[32:33], v[8:9], v[100:101], v[32:33]
	v_fma_f64 v[32:33], v[10:11], v[44:45], v[32:33]
	s_delay_alu instid0(VALU_DEP_1) | instskip(NEXT) | instid1(VALU_DEP_1)
	v_fma_f64 v[32:33], v[12:13], v[36:37], v[32:33]
	v_fma_f64 v[32:33], v[14:15], v[102:103], v[32:33]
	;; [unrolled: 3-line block ×3, first 2 shown]
	v_fma_f64 v[32:33], v[2:3], v[92:93], 0
	s_delay_alu instid0(VALU_DEP_1) | instskip(NEXT) | instid1(VALU_DEP_1)
	v_fma_f64 v[32:33], v[4:5], v[186:187], v[32:33]
	v_fma_f64 v[32:33], v[8:9], v[144:145], v[32:33]
	s_delay_alu instid0(VALU_DEP_1) | instskip(NEXT) | instid1(VALU_DEP_1)
	v_fma_f64 v[32:33], v[10:11], v[57:58], v[32:33]
	;; [unrolled: 3-line block ×3, first 2 shown]
	v_fma_f64 v[32:33], v[16:17], v[18:19], v[32:33]
	s_delay_alu instid0(VALU_DEP_1) | instskip(SKIP_3) | instid1(VALU_DEP_1)
	v_fma_f64 v[0:1], v[20:21], v[66:67], v[32:33]
	v_fma_f64 v[32:33], v[2:3], v[84:85], 0
	scratch_store_b64 off, v[0:1], off offset:640 ; 8-byte Folded Spill
	v_fma_f64 v[32:33], v[4:5], v[178:179], v[32:33]
	v_fma_f64 v[32:33], v[8:9], v[180:181], v[32:33]
	s_delay_alu instid0(VALU_DEP_1) | instskip(NEXT) | instid1(VALU_DEP_1)
	v_fma_f64 v[32:33], v[10:11], v[184:185], v[32:33]
	v_fma_f64 v[32:33], v[12:13], v[46:47], v[32:33]
	s_delay_alu instid0(VALU_DEP_1) | instskip(NEXT) | instid1(VALU_DEP_1)
	v_fma_f64 v[32:33], v[14:15], v[114:115], v[32:33]
	v_fma_f64 v[32:33], v[16:17], v[108:109], v[32:33]
	s_delay_alu instid0(VALU_DEP_1) | instskip(SKIP_3) | instid1(VALU_DEP_1)
	v_fma_f64 v[0:1], v[20:21], v[86:87], v[32:33]
	v_fma_f64 v[32:33], v[2:3], v[82:83], 0
	scratch_store_b64 off, v[0:1], off offset:1048 ; 8-byte Folded Spill
	v_fma_f64 v[32:33], v[4:5], v[126:127], v[32:33]
	v_fma_f64 v[32:33], v[8:9], v[170:171], v[32:33]
	s_delay_alu instid0(VALU_DEP_1) | instskip(NEXT) | instid1(VALU_DEP_1)
	v_fma_f64 v[32:33], v[10:11], v[176:177], v[32:33]
	v_fma_f64 v[32:33], v[12:13], v[120:121], v[32:33]
	s_delay_alu instid0(VALU_DEP_1) | instskip(NEXT) | instid1(VALU_DEP_1)
	v_fma_f64 v[32:33], v[14:15], v[140:141], v[32:33]
	;; [unrolled: 12-line block ×3, first 2 shown]
	v_fma_f64 v[32:33], v[16:17], v[146:147], v[32:33]
	s_delay_alu instid0(VALU_DEP_1)
	v_fma_f64 v[172:173], v[20:21], v[34:35], v[32:33]
	v_fma_f64 v[32:33], v[2:3], v[76:77], 0
	scratch_load_b64 v[2:3], off, off offset:976 ; 8-byte Folded Reload
	v_fma_f64 v[32:33], v[4:5], v[132:133], v[32:33]
	scratch_load_b64 v[4:5], off, off offset:984 ; 8-byte Folded Reload
	;; [unrolled: 2-line block ×8, first 2 shown]
	s_waitcnt vmcnt(7)
	v_fma_f64 v[32:33], v[2:3], v[72:73], 0
	s_waitcnt vmcnt(6)
	s_delay_alu instid0(VALU_DEP_1) | instskip(SKIP_1) | instid1(VALU_DEP_1)
	v_fma_f64 v[32:33], v[4:5], v[110:111], v[32:33]
	s_waitcnt vmcnt(5)
	v_fma_f64 v[32:33], v[8:9], v[6:7], v[32:33]
	s_waitcnt vmcnt(4)
	s_delay_alu instid0(VALU_DEP_1) | instskip(SKIP_1) | instid1(VALU_DEP_1)
	v_fma_f64 v[32:33], v[10:11], v[38:39], v[32:33]
	;; [unrolled: 5-line block ×3, first 2 shown]
	s_waitcnt vmcnt(1)
	v_fma_f64 v[32:33], v[16:17], v[61:62], v[32:33]
	s_waitcnt vmcnt(0)
	s_delay_alu instid0(VALU_DEP_1) | instskip(SKIP_3) | instid1(VALU_DEP_1)
	v_fma_f64 v[0:1], v[20:21], v[59:60], v[32:33]
	v_fma_f64 v[32:33], v[2:3], v[74:75], 0
	scratch_store_b64 off, v[0:1], off offset:272 ; 8-byte Folded Spill
	v_fma_f64 v[32:33], v[4:5], v[53:54], v[32:33]
	v_fma_f64 v[32:33], v[8:9], v[112:113], v[32:33]
	s_delay_alu instid0(VALU_DEP_1) | instskip(NEXT) | instid1(VALU_DEP_1)
	v_fma_f64 v[32:33], v[10:11], v[90:91], v[32:33]
	v_fma_f64 v[32:33], v[12:13], v[40:41], v[32:33]
	s_delay_alu instid0(VALU_DEP_1) | instskip(NEXT) | instid1(VALU_DEP_1)
	v_fma_f64 v[32:33], v[14:15], v[42:43], v[32:33]
	v_fma_f64 v[32:33], v[16:17], v[48:49], v[32:33]
	s_delay_alu instid0(VALU_DEP_1) | instskip(SKIP_3) | instid1(VALU_DEP_1)
	v_fma_f64 v[0:1], v[20:21], v[50:51], v[32:33]
	v_fma_f64 v[32:33], v[2:3], v[94:95], 0
	scratch_store_b64 off, v[0:1], off offset:480 ; 8-byte Folded Spill
	v_fma_f64 v[32:33], v[4:5], v[190:191], v[32:33]
	v_fma_f64 v[32:33], v[8:9], v[100:101], v[32:33]
	s_delay_alu instid0(VALU_DEP_1) | instskip(NEXT) | instid1(VALU_DEP_1)
	v_fma_f64 v[32:33], v[10:11], v[44:45], v[32:33]
	v_fma_f64 v[32:33], v[12:13], v[36:37], v[32:33]
	s_delay_alu instid0(VALU_DEP_1) | instskip(NEXT) | instid1(VALU_DEP_1)
	v_fma_f64 v[32:33], v[14:15], v[102:103], v[32:33]
	v_fma_f64 v[32:33], v[16:17], v[104:105], v[32:33]
	;; [unrolled: 12-line block ×6, first 2 shown]
	s_delay_alu instid0(VALU_DEP_1)
	v_fma_f64 v[0:1], v[20:21], v[34:35], v[32:33]
	v_fma_f64 v[32:33], v[2:3], v[76:77], 0
	s_clause 0x1
	scratch_load_b64 v[2:3], off, off offset:952
	scratch_load_b64 v[30:31], off, off offset:880
	scratch_store_b64 off, v[0:1], off offset:1024 ; 8-byte Folded Spill
	v_fma_f64 v[32:33], v[4:5], v[132:133], v[32:33]
	scratch_load_b64 v[4:5], off, off offset:960 ; 8-byte Folded Reload
	v_fma_f64 v[32:33], v[8:9], v[116:117], v[32:33]
	scratch_load_b64 v[8:9], off, off offset:968 ; 8-byte Folded Reload
	v_fma_f64 v[32:33], v[10:11], v[118:119], v[32:33]
	scratch_load_b64 v[10:11], off, off offset:1264 ; 8-byte Folded Reload
	v_fma_f64 v[32:33], v[12:13], v[78:79], v[32:33]
	scratch_load_b64 v[12:13], off, off offset:288 ; 8-byte Folded Reload
	v_fma_f64 v[32:33], v[14:15], v[28:29], v[32:33]
	scratch_load_b64 v[14:15], off, off offset:1560 ; 8-byte Folded Reload
	v_fma_f64 v[32:33], v[16:17], v[24:25], v[32:33]
	scratch_load_b64 v[16:17], off, off offset:1568 ; 8-byte Folded Reload
	v_fma_f64 v[0:1], v[20:21], v[168:169], v[32:33]
	scratch_store_b64 off, v[0:1], off offset:976 ; 8-byte Folded Spill
	scratch_load_b64 v[0:1], off, off offset:944 ; 8-byte Folded Reload
	s_waitcnt vmcnt(0)
	v_fma_f64 v[32:33], v[0:1], v[72:73], 0
	s_delay_alu instid0(VALU_DEP_1) | instskip(NEXT) | instid1(VALU_DEP_1)
	v_fma_f64 v[32:33], v[2:3], v[110:111], v[32:33]
	v_fma_f64 v[32:33], v[4:5], v[6:7], v[32:33]
	s_delay_alu instid0(VALU_DEP_1) | instskip(NEXT) | instid1(VALU_DEP_1)
	v_fma_f64 v[32:33], v[8:9], v[38:39], v[32:33]
	;; [unrolled: 3-line block ×3, first 2 shown]
	v_fma_f64 v[32:33], v[14:15], v[61:62], v[32:33]
	s_delay_alu instid0(VALU_DEP_1) | instskip(SKIP_1) | instid1(VALU_DEP_1)
	v_fma_f64 v[134:135], v[16:17], v[59:60], v[32:33]
	v_fma_f64 v[32:33], v[0:1], v[74:75], 0
	;; [unrolled: 1-line block ×3, first 2 shown]
	s_delay_alu instid0(VALU_DEP_1) | instskip(NEXT) | instid1(VALU_DEP_1)
	v_fma_f64 v[32:33], v[4:5], v[112:113], v[32:33]
	v_fma_f64 v[32:33], v[8:9], v[90:91], v[32:33]
	s_delay_alu instid0(VALU_DEP_1) | instskip(NEXT) | instid1(VALU_DEP_1)
	v_fma_f64 v[32:33], v[10:11], v[40:41], v[32:33]
	v_fma_f64 v[32:33], v[12:13], v[42:43], v[32:33]
	s_delay_alu instid0(VALU_DEP_1) | instskip(NEXT) | instid1(VALU_DEP_1)
	v_fma_f64 v[32:33], v[14:15], v[48:49], v[32:33]
	v_fma_f64 v[20:21], v[16:17], v[50:51], v[32:33]
	v_fma_f64 v[32:33], v[0:1], v[94:95], 0
	scratch_store_b64 off, v[20:21], off offset:984 ; 8-byte Folded Spill
	v_fma_f64 v[32:33], v[2:3], v[190:191], v[32:33]
	s_delay_alu instid0(VALU_DEP_1) | instskip(NEXT) | instid1(VALU_DEP_1)
	v_fma_f64 v[32:33], v[4:5], v[100:101], v[32:33]
	v_fma_f64 v[32:33], v[8:9], v[44:45], v[32:33]
	s_delay_alu instid0(VALU_DEP_1) | instskip(NEXT) | instid1(VALU_DEP_1)
	v_fma_f64 v[32:33], v[10:11], v[36:37], v[32:33]
	v_fma_f64 v[32:33], v[12:13], v[102:103], v[32:33]
	s_delay_alu instid0(VALU_DEP_1) | instskip(NEXT) | instid1(VALU_DEP_1)
	v_fma_f64 v[32:33], v[14:15], v[104:105], v[32:33]
	v_fma_f64 v[20:21], v[16:17], v[106:107], v[32:33]
	v_fma_f64 v[32:33], v[0:1], v[92:93], 0
	scratch_store_b64 off, v[20:21], off offset:992 ; 8-byte Folded Spill
	v_fma_f64 v[32:33], v[2:3], v[186:187], v[32:33]
	;; [unrolled: 12-line block ×5, first 2 shown]
	s_delay_alu instid0(VALU_DEP_1) | instskip(NEXT) | instid1(VALU_DEP_1)
	v_fma_f64 v[32:33], v[4:5], v[138:139], v[32:33]
	v_fma_f64 v[32:33], v[8:9], v[142:143], v[32:33]
	s_delay_alu instid0(VALU_DEP_1) | instskip(NEXT) | instid1(VALU_DEP_1)
	v_fma_f64 v[32:33], v[10:11], v[182:183], v[32:33]
	v_fma_f64 v[32:33], v[12:13], v[188:189], v[32:33]
	;; [unrolled: 3-line block ×3, first 2 shown]
	v_fma_f64 v[32:33], v[0:1], v[76:77], 0
	s_delay_alu instid0(VALU_DEP_1)
	v_fma_f64 v[32:33], v[2:3], v[132:133], v[32:33]
	scratch_load_b64 v[2:3], off, off offset:920 ; 8-byte Folded Reload
	v_fma_f64 v[32:33], v[4:5], v[116:117], v[32:33]
	scratch_load_b64 v[4:5], off, off offset:928 ; 8-byte Folded Reload
	;; [unrolled: 2-line block ×6, first 2 shown]
	v_fma_f64 v[0:1], v[16:17], v[168:169], v[32:33]
	scratch_store_b64 off, v[20:21], off offset:1064 ; 8-byte Folded Spill
	scratch_load_b64 v[16:17], off, off offset:1552 ; 8-byte Folded Reload
	scratch_store_b64 off, v[0:1], off offset:288 ; 8-byte Folded Spill
	scratch_load_b64 v[0:1], off, off offset:912 ; 8-byte Folded Reload
	s_waitcnt vmcnt(0)
	v_fma_f64 v[32:33], v[0:1], v[72:73], 0
	s_delay_alu instid0(VALU_DEP_1) | instskip(NEXT) | instid1(VALU_DEP_1)
	v_fma_f64 v[32:33], v[2:3], v[110:111], v[32:33]
	v_fma_f64 v[32:33], v[4:5], v[6:7], v[32:33]
	s_delay_alu instid0(VALU_DEP_1) | instskip(NEXT) | instid1(VALU_DEP_1)
	v_fma_f64 v[32:33], v[8:9], v[38:39], v[32:33]
	v_fma_f64 v[32:33], v[10:11], v[70:71], v[32:33]
	s_delay_alu instid0(VALU_DEP_1) | instskip(NEXT) | instid1(VALU_DEP_1)
	v_fma_f64 v[32:33], v[12:13], v[55:56], v[32:33]
	v_fma_f64 v[32:33], v[14:15], v[61:62], v[32:33]
	s_delay_alu instid0(VALU_DEP_1) | instskip(SKIP_1) | instid1(VALU_DEP_1)
	v_fma_f64 v[130:131], v[16:17], v[59:60], v[32:33]
	v_fma_f64 v[32:33], v[0:1], v[74:75], 0
	;; [unrolled: 1-line block ×3, first 2 shown]
	s_delay_alu instid0(VALU_DEP_1) | instskip(NEXT) | instid1(VALU_DEP_1)
	v_fma_f64 v[32:33], v[4:5], v[112:113], v[32:33]
	v_fma_f64 v[32:33], v[8:9], v[90:91], v[32:33]
	s_delay_alu instid0(VALU_DEP_1) | instskip(NEXT) | instid1(VALU_DEP_1)
	v_fma_f64 v[32:33], v[10:11], v[40:41], v[32:33]
	v_fma_f64 v[32:33], v[12:13], v[42:43], v[32:33]
	s_delay_alu instid0(VALU_DEP_1) | instskip(NEXT) | instid1(VALU_DEP_1)
	v_fma_f64 v[32:33], v[14:15], v[48:49], v[32:33]
	v_fma_f64 v[20:21], v[16:17], v[50:51], v[32:33]
	v_fma_f64 v[32:33], v[0:1], v[94:95], 0
	scratch_store_b64 off, v[20:21], off offset:944 ; 8-byte Folded Spill
	v_fma_f64 v[32:33], v[2:3], v[190:191], v[32:33]
	s_delay_alu instid0(VALU_DEP_1) | instskip(NEXT) | instid1(VALU_DEP_1)
	v_fma_f64 v[32:33], v[4:5], v[100:101], v[32:33]
	v_fma_f64 v[32:33], v[8:9], v[44:45], v[32:33]
	s_delay_alu instid0(VALU_DEP_1) | instskip(NEXT) | instid1(VALU_DEP_1)
	v_fma_f64 v[32:33], v[10:11], v[36:37], v[32:33]
	v_fma_f64 v[32:33], v[12:13], v[102:103], v[32:33]
	s_delay_alu instid0(VALU_DEP_1) | instskip(NEXT) | instid1(VALU_DEP_1)
	v_fma_f64 v[32:33], v[14:15], v[104:105], v[32:33]
	v_fma_f64 v[20:21], v[16:17], v[106:107], v[32:33]
	v_fma_f64 v[32:33], v[0:1], v[92:93], 0
	scratch_store_b64 off, v[20:21], off offset:952 ; 8-byte Folded Spill
	v_fma_f64 v[32:33], v[2:3], v[186:187], v[32:33]
	;; [unrolled: 12-line block ×5, first 2 shown]
	s_delay_alu instid0(VALU_DEP_1) | instskip(NEXT) | instid1(VALU_DEP_1)
	v_fma_f64 v[32:33], v[4:5], v[138:139], v[32:33]
	v_fma_f64 v[32:33], v[8:9], v[142:143], v[32:33]
	s_delay_alu instid0(VALU_DEP_1) | instskip(NEXT) | instid1(VALU_DEP_1)
	v_fma_f64 v[32:33], v[10:11], v[182:183], v[32:33]
	v_fma_f64 v[32:33], v[12:13], v[188:189], v[32:33]
	;; [unrolled: 3-line block ×3, first 2 shown]
	v_fma_f64 v[32:33], v[0:1], v[76:77], 0
	s_delay_alu instid0(VALU_DEP_1) | instskip(NEXT) | instid1(VALU_DEP_1)
	v_fma_f64 v[32:33], v[2:3], v[132:133], v[32:33]
	v_fma_f64 v[32:33], v[4:5], v[116:117], v[32:33]
	scratch_load_b64 v[4:5], off, off offset:1448 ; 8-byte Folded Reload
	v_fma_f64 v[32:33], v[8:9], v[118:119], v[32:33]
	scratch_load_b64 v[8:9], off, off offset:896 ; 8-byte Folded Reload
	v_fma_f64 v[32:33], v[10:11], v[78:79], v[32:33]
	s_delay_alu instid0(VALU_DEP_1)
	v_fma_f64 v[32:33], v[12:13], v[28:29], v[32:33]
	scratch_load_b64 v[12:13], off, off offset:904 ; 8-byte Folded Reload
	v_fma_f64 v[32:33], v[14:15], v[24:25], v[32:33]
	scratch_load_b64 v[14:15], off, off offset:1504 ; 8-byte Folded Reload
	;; [unrolled: 2-line block ×3, first 2 shown]
	scratch_store_b64 off, v[20:21], off offset:1264 ; 8-byte Folded Spill
	scratch_load_b64 v[20:21], off, off offset:816 ; 8-byte Folded Reload
	scratch_store_b64 off, v[0:1], off offset:848 ; 8-byte Folded Spill
	s_waitcnt vmcnt(5)
	v_fma_f64 v[32:33], v[4:5], v[72:73], 0
	s_waitcnt vmcnt(4)
	s_delay_alu instid0(VALU_DEP_1) | instskip(SKIP_1) | instid1(VALU_DEP_1)
	v_fma_f64 v[32:33], v[8:9], v[110:111], v[32:33]
	s_waitcnt vmcnt(3)
	v_fma_f64 v[32:33], v[12:13], v[6:7], v[32:33]
	s_waitcnt vmcnt(2)
	s_delay_alu instid0(VALU_DEP_1) | instskip(SKIP_1) | instid1(VALU_DEP_1)
	v_fma_f64 v[32:33], v[14:15], v[38:39], v[32:33]
	s_waitcnt vmcnt(1)
	v_fma_f64 v[32:33], v[16:17], v[70:71], v[32:33]
	s_waitcnt vmcnt(0)
	s_delay_alu instid0(VALU_DEP_1) | instskip(NEXT) | instid1(VALU_DEP_1)
	v_fma_f64 v[32:33], v[20:21], v[55:56], v[32:33]
	v_fma_f64 v[32:33], v[22:23], v[61:62], v[32:33]
	s_delay_alu instid0(VALU_DEP_1) | instskip(SKIP_1) | instid1(VALU_DEP_1)
	v_fma_f64 v[122:123], v[26:27], v[59:60], v[32:33]
	v_fma_f64 v[32:33], v[4:5], v[74:75], 0
	v_fma_f64 v[32:33], v[8:9], v[53:54], v[32:33]
	s_delay_alu instid0(VALU_DEP_1) | instskip(NEXT) | instid1(VALU_DEP_1)
	v_fma_f64 v[32:33], v[12:13], v[112:113], v[32:33]
	v_fma_f64 v[32:33], v[14:15], v[90:91], v[32:33]
	s_delay_alu instid0(VALU_DEP_1) | instskip(NEXT) | instid1(VALU_DEP_1)
	v_fma_f64 v[32:33], v[16:17], v[40:41], v[32:33]
	v_fma_f64 v[32:33], v[20:21], v[42:43], v[32:33]
	s_delay_alu instid0(VALU_DEP_1) | instskip(NEXT) | instid1(VALU_DEP_1)
	v_fma_f64 v[32:33], v[22:23], v[48:49], v[32:33]
	v_fma_f64 v[0:1], v[26:27], v[50:51], v[32:33]
	v_fma_f64 v[32:33], v[4:5], v[94:95], 0
	s_delay_alu instid0(VALU_DEP_1) | instskip(NEXT) | instid1(VALU_DEP_1)
	v_fma_f64 v[32:33], v[8:9], v[190:191], v[32:33]
	v_fma_f64 v[32:33], v[12:13], v[100:101], v[32:33]
	s_delay_alu instid0(VALU_DEP_1) | instskip(NEXT) | instid1(VALU_DEP_1)
	v_fma_f64 v[32:33], v[14:15], v[44:45], v[32:33]
	v_fma_f64 v[32:33], v[16:17], v[36:37], v[32:33]
	s_delay_alu instid0(VALU_DEP_1) | instskip(NEXT) | instid1(VALU_DEP_1)
	v_fma_f64 v[32:33], v[20:21], v[102:103], v[32:33]
	v_fma_f64 v[32:33], v[22:23], v[104:105], v[32:33]
	s_delay_alu instid0(VALU_DEP_1) | instskip(SKIP_1) | instid1(VALU_DEP_1)
	v_fma_f64 v[128:129], v[26:27], v[106:107], v[32:33]
	v_fma_f64 v[32:33], v[4:5], v[92:93], 0
	v_fma_f64 v[32:33], v[8:9], v[186:187], v[32:33]
	s_delay_alu instid0(VALU_DEP_1) | instskip(NEXT) | instid1(VALU_DEP_1)
	v_fma_f64 v[32:33], v[12:13], v[144:145], v[32:33]
	v_fma_f64 v[32:33], v[14:15], v[57:58], v[32:33]
	s_delay_alu instid0(VALU_DEP_1) | instskip(NEXT) | instid1(VALU_DEP_1)
	v_fma_f64 v[32:33], v[16:17], v[88:89], v[32:33]
	v_fma_f64 v[32:33], v[20:21], v[98:99], v[32:33]
	s_delay_alu instid0(VALU_DEP_1) | instskip(NEXT) | instid1(VALU_DEP_1)
	v_fma_f64 v[32:33], v[22:23], v[18:19], v[32:33]
	v_fma_f64 v[148:149], v[26:27], v[66:67], v[32:33]
	v_fma_f64 v[32:33], v[4:5], v[84:85], 0
	s_delay_alu instid0(VALU_DEP_1) | instskip(NEXT) | instid1(VALU_DEP_1)
	v_fma_f64 v[32:33], v[8:9], v[178:179], v[32:33]
	v_fma_f64 v[32:33], v[12:13], v[180:181], v[32:33]
	s_delay_alu instid0(VALU_DEP_1) | instskip(NEXT) | instid1(VALU_DEP_1)
	v_fma_f64 v[32:33], v[14:15], v[184:185], v[32:33]
	v_fma_f64 v[32:33], v[16:17], v[46:47], v[32:33]
	;; [unrolled: 23-line block ×3, first 2 shown]
	s_delay_alu instid0(VALU_DEP_1) | instskip(NEXT) | instid1(VALU_DEP_1)
	v_fma_f64 v[32:33], v[20:21], v[188:189], v[32:33]
	v_fma_f64 v[32:33], v[22:23], v[146:147], v[32:33]
	s_delay_alu instid0(VALU_DEP_1) | instskip(SKIP_1) | instid1(VALU_DEP_1)
	v_fma_f64 v[10:11], v[26:27], v[34:35], v[32:33]
	v_fma_f64 v[32:33], v[4:5], v[76:77], 0
	;; [unrolled: 1-line block ×3, first 2 shown]
	scratch_load_b64 v[8:9], off, off offset:1488 ; 8-byte Folded Reload
	v_fma_f64 v[32:33], v[12:13], v[116:117], v[32:33]
	scratch_load_b64 v[12:13], off, off offset:1496 ; 8-byte Folded Reload
	v_fma_f64 v[32:33], v[14:15], v[118:119], v[32:33]
	;; [unrolled: 2-line block ×7, first 2 shown]
	s_waitcnt vmcnt(0)
	s_delay_alu instid0(VALU_DEP_1) | instskip(NEXT) | instid1(VALU_DEP_1)
	v_fma_f64 v[32:33], v[26:27], v[110:111], v[32:33]
	v_fma_f64 v[32:33], v[22:23], v[6:7], v[32:33]
	s_delay_alu instid0(VALU_DEP_1) | instskip(NEXT) | instid1(VALU_DEP_1)
	v_fma_f64 v[32:33], v[16:17], v[38:39], v[32:33]
	v_fma_f64 v[32:33], v[12:13], v[70:71], v[32:33]
	s_delay_alu instid0(VALU_DEP_1) | instskip(NEXT) | instid1(VALU_DEP_1)
	v_fma_f64 v[32:33], v[8:9], v[55:56], v[32:33]
	v_fma_f64 v[32:33], v[14:15], v[61:62], v[32:33]
	s_delay_alu instid0(VALU_DEP_1) | instskip(SKIP_1) | instid1(VALU_DEP_1)
	v_fma_f64 v[38:39], v[20:21], v[59:60], v[32:33]
	v_fma_f64 v[32:33], v[30:31], v[74:75], 0
	;; [unrolled: 1-line block ×3, first 2 shown]
	s_delay_alu instid0(VALU_DEP_1) | instskip(NEXT) | instid1(VALU_DEP_1)
	v_fma_f64 v[32:33], v[22:23], v[112:113], v[32:33]
	v_fma_f64 v[32:33], v[16:17], v[90:91], v[32:33]
	s_delay_alu instid0(VALU_DEP_1) | instskip(SKIP_1) | instid1(VALU_DEP_2)
	v_fma_f64 v[32:33], v[12:13], v[40:41], v[32:33]
	v_fma_f64 v[40:41], v[30:31], v[94:95], 0
	;; [unrolled: 1-line block ×3, first 2 shown]
	s_delay_alu instid0(VALU_DEP_2) | instskip(NEXT) | instid1(VALU_DEP_2)
	v_fma_f64 v[40:41], v[26:27], v[190:191], v[40:41]
	v_fma_f64 v[32:33], v[14:15], v[48:49], v[32:33]
	s_delay_alu instid0(VALU_DEP_2) | instskip(NEXT) | instid1(VALU_DEP_2)
	v_fma_f64 v[40:41], v[22:23], v[100:101], v[40:41]
	v_fma_f64 v[32:33], v[20:21], v[50:51], v[32:33]
	;; [unrolled: 1-line block ×3, first 2 shown]
	s_delay_alu instid0(VALU_DEP_3) | instskip(SKIP_2) | instid1(VALU_DEP_4)
	v_fma_f64 v[40:41], v[16:17], v[44:45], v[40:41]
	v_fma_f64 v[49:50], v[30:31], v[82:83], 0
	;; [unrolled: 1-line block ×4, first 2 shown]
	s_delay_alu instid0(VALU_DEP_4) | instskip(NEXT) | instid1(VALU_DEP_4)
	v_fma_f64 v[40:41], v[12:13], v[36:37], v[40:41]
	v_fma_f64 v[49:50], v[26:27], v[126:127], v[49:50]
	s_delay_alu instid0(VALU_DEP_4) | instskip(NEXT) | instid1(VALU_DEP_4)
	v_fma_f64 v[44:45], v[26:27], v[178:179], v[44:45]
	v_fma_f64 v[51:52], v[22:23], v[138:139], v[51:52]
	;; [unrolled: 3-line block ×6, first 2 shown]
	s_delay_alu instid0(VALU_DEP_4) | instskip(SKIP_4) | instid1(VALU_DEP_4)
	v_fma_f64 v[102:103], v[20:21], v[106:107], v[40:41]
	v_fma_f64 v[40:41], v[30:31], v[92:93], 0
	;; [unrolled: 1-line block ×6, first 2 shown]
	s_delay_alu instid0(VALU_DEP_4) | instskip(NEXT) | instid1(VALU_DEP_4)
	v_fma_f64 v[49:50], v[8:9], v[140:141], v[49:50]
	v_fma_f64 v[44:45], v[8:9], v[114:115], v[44:45]
	s_delay_alu instid0(VALU_DEP_4) | instskip(NEXT) | instid1(VALU_DEP_4)
	v_fma_f64 v[51:52], v[14:15], v[146:147], v[51:52]
	v_fma_f64 v[40:41], v[22:23], v[144:145], v[40:41]
	;; [unrolled: 3-line block ×3, first 2 shown]
	s_delay_alu instid0(VALU_DEP_4) | instskip(SKIP_4) | instid1(VALU_DEP_4)
	v_fma_f64 v[144:145], v[20:21], v[34:35], v[51:52]
	v_fma_f64 v[51:52], v[30:31], v[76:77], 0
	;; [unrolled: 1-line block ×6, first 2 shown]
	s_delay_alu instid0(VALU_DEP_4) | instskip(NEXT) | instid1(VALU_DEP_2)
	v_fma_f64 v[40:41], v[12:13], v[88:89], v[40:41]
	v_fma_f64 v[51:52], v[22:23], v[116:117], v[51:52]
	s_delay_alu instid0(VALU_DEP_2) | instskip(NEXT) | instid1(VALU_DEP_2)
	v_fma_f64 v[40:41], v[8:9], v[98:99], v[40:41]
	v_fma_f64 v[51:52], v[16:17], v[118:119], v[51:52]
	s_delay_alu instid0(VALU_DEP_2) | instskip(NEXT) | instid1(VALU_DEP_2)
	;; [unrolled: 3-line block ×3, first 2 shown]
	v_fma_f64 v[40:41], v[20:21], v[66:67], v[40:41]
	v_fma_f64 v[51:52], v[8:9], v[28:29], v[51:52]
	s_delay_alu instid0(VALU_DEP_1) | instskip(NEXT) | instid1(VALU_DEP_1)
	v_fma_f64 v[51:52], v[14:15], v[24:25], v[51:52]
	v_fma_f64 v[146:147], v[20:21], v[168:169], v[51:52]
	s_clause 0x1
	scratch_load_b128 v[51:54], off, off offset:1752
	scratch_load_b64 v[6:7], off, off offset:1392
	s_waitcnt vmcnt(0)
	v_add_f64 v[140:141], v[51:52], v[6:7]
	scratch_load_b64 v[6:7], off, off offset:1072 ; 8-byte Folded Reload
	s_waitcnt vmcnt(0)
	v_add_f64 v[142:143], v[53:54], v[6:7]
	s_clause 0x1
	scratch_load_b128 v[51:54], off, off offset:1736
	scratch_load_b64 v[6:7], off, off offset:1616
	s_waitcnt vmcnt(0)
	v_add_f64 v[110:111], v[51:52], v[6:7]
	scratch_load_b64 v[6:7], off, off offset:272 ; 8-byte Folded Reload
	s_waitcnt vmcnt(0)
	v_add_f64 v[112:113], v[53:54], v[6:7]
	scratch_load_b128 v[51:54], off, off offset:1720 ; 16-byte Folded Reload
	s_waitcnt vmcnt(0)
	v_add_f64 v[164:165], v[51:52], v[134:135]
	v_add_f64 v[166:167], v[53:54], v[130:131]
	scratch_load_b128 v[51:54], off, off offset:1704 ; 16-byte Folded Reload
	s_waitcnt vmcnt(0)
	v_add_f64 v[6:7], v[51:52], v[122:123]
	v_add_f64 v[8:9], v[53:54], v[38:39]
	scratch_store_b128 off, v[6:9], off offset:624 ; 16-byte Folded Spill
	s_clause 0x1
	scratch_load_b128 v[51:54], off, off offset:1816
	scratch_load_b64 v[6:7], off, off offset:1400
	s_waitcnt vmcnt(0)
	v_add_f64 v[136:137], v[51:52], v[6:7]
	scratch_load_b64 v[6:7], off, off offset:1088 ; 8-byte Folded Reload
	s_waitcnt vmcnt(0)
	v_add_f64 v[138:139], v[53:54], v[6:7]
	s_clause 0x1
	scratch_load_b128 v[51:54], off, off offset:1800
	scratch_load_b64 v[6:7], off, off offset:480
	s_waitcnt vmcnt(1)
	v_add_f64 v[120:121], v[51:52], v[160:161]
	s_waitcnt vmcnt(0)
	v_add_f64 v[122:123], v[53:54], v[6:7]
	s_clause 0x1
	scratch_load_b128 v[51:54], off, off offset:1784
	scratch_load_b64 v[6:7], off, off offset:984
	s_waitcnt vmcnt(0)
	v_add_f64 v[88:89], v[51:52], v[6:7]
	scratch_load_b64 v[6:7], off, off offset:944 ; 8-byte Folded Reload
	s_waitcnt vmcnt(0)
	v_add_f64 v[90:91], v[53:54], v[6:7]
	scratch_load_b128 v[51:54], off, off offset:1768 ; 16-byte Folded Reload
	s_waitcnt vmcnt(0)
	v_add_f64 v[6:7], v[51:52], v[0:1]
	v_add_f64 v[8:9], v[53:54], v[32:33]
	scratch_store_b128 off, v[6:9], off offset:608 ; 16-byte Folded Spill
	s_clause 0x1
	scratch_load_b128 v[32:35], off, off offset:1880
	scratch_load_b64 v[0:1], off, off offset:1408
	s_waitcnt vmcnt(0)
	v_add_f64 v[132:133], v[32:33], v[0:1]
	scratch_load_b64 v[0:1], off, off offset:1536 ; 8-byte Folded Reload
	s_waitcnt vmcnt(0)
	v_add_f64 v[134:135], v[34:35], v[0:1]
	s_clause 0x1
	scratch_load_b128 v[32:35], off, off offset:1864
	scratch_load_b64 v[0:1], off, off offset:512
	s_waitcnt vmcnt(1)
	v_add_f64 v[116:117], v[32:33], v[162:163]
	s_waitcnt vmcnt(0)
	v_add_f64 v[118:119], v[34:35], v[0:1]
	s_clause 0x1
	scratch_load_b128 v[32:35], off, off offset:1848
	scratch_load_b64 v[0:1], off, off offset:992
	s_waitcnt vmcnt(0)
	v_add_f64 v[98:99], v[32:33], v[0:1]
	scratch_load_b64 v[0:1], off, off offset:952 ; 8-byte Folded Reload
	s_waitcnt vmcnt(0)
	v_add_f64 v[100:101], v[34:35], v[0:1]
	scratch_load_b128 v[32:35], off, off offset:1832 ; 16-byte Folded Reload
	s_waitcnt vmcnt(0)
	v_add_f64 v[188:189], v[32:33], v[128:129]
	v_add_f64 v[190:191], v[34:35], v[102:103]
	s_clause 0x1
	scratch_load_b128 v[32:35], off, off offset:1944
	scratch_load_b64 v[0:1], off, off offset:1416
	s_waitcnt vmcnt(0)
	v_add_f64 v[128:129], v[32:33], v[0:1]
	scratch_load_b64 v[0:1], off, off offset:1632 ; 8-byte Folded Reload
	s_waitcnt vmcnt(0)
	v_add_f64 v[130:131], v[34:35], v[0:1]
	s_clause 0x1
	scratch_load_b128 v[32:35], off, off offset:1928
	scratch_load_b64 v[0:1], off, off offset:640
	s_waitcnt vmcnt(0)
	v_add_f64 v[6:7], v[32:33], v[0:1]
	scratch_load_b64 v[0:1], off, off offset:528 ; 8-byte Folded Reload
	s_waitcnt vmcnt(0)
	v_add_f64 v[8:9], v[34:35], v[0:1]
	scratch_store_b128 off, v[6:9], off offset:640 ; 16-byte Folded Spill
	s_clause 0x1
	scratch_load_b128 v[32:35], off, off offset:1912
	scratch_load_b64 v[0:1], off, off offset:1000
	s_waitcnt vmcnt(0)
	v_add_f64 v[64:65], v[32:33], v[0:1]
	scratch_load_b64 v[0:1], off, off offset:960 ; 8-byte Folded Reload
	s_waitcnt vmcnt(0)
	v_add_f64 v[66:67], v[34:35], v[0:1]
	scratch_load_b128 v[32:35], off, off offset:1896 ; 16-byte Folded Reload
	s_waitcnt vmcnt(0)
	v_add_f64 v[60:61], v[32:33], v[148:149]
	v_add_f64 v[62:63], v[34:35], v[40:41]
	s_clause 0x1
	scratch_load_b128 v[32:35], off, off offset:2008
	scratch_load_b64 v[0:1], off, off offset:1424
	s_waitcnt vmcnt(1)
	v_add_f64 v[86:87], v[34:35], v[150:151]
	s_waitcnt vmcnt(0)
	v_add_f64 v[84:85], v[32:33], v[0:1]
	s_clause 0x1
	scratch_load_b128 v[32:35], off, off offset:1992
	scratch_load_b64 v[0:1], off, off offset:1048
	s_waitcnt vmcnt(0)
	v_add_f64 v[46:47], v[32:33], v[0:1]
	scratch_load_b64 v[0:1], off, off offset:1008 ; 8-byte Folded Reload
	s_waitcnt vmcnt(0)
	v_add_f64 v[48:49], v[34:35], v[0:1]
	s_clause 0x1
	scratch_load_b128 v[32:35], off, off offset:1976
	scratch_load_b64 v[0:1], off, off offset:1032
	s_waitcnt vmcnt(0)
	v_add_f64 v[6:7], v[32:33], v[0:1]
	scratch_load_b64 v[0:1], off, off offset:968 ; 8-byte Folded Reload
	s_waitcnt vmcnt(0)
	v_add_f64 v[8:9], v[34:35], v[0:1]
	scratch_load_b128 v[32:35], off, off offset:1960 ; 16-byte Folded Reload
	scratch_store_b128 off, v[6:9], off offset:528 ; 16-byte Folded Spill
	s_waitcnt vmcnt(0)
	v_add_f64 v[160:161], v[32:33], v[124:125]
	v_add_f64 v[162:163], v[34:35], v[44:45]
	s_clause 0x1
	scratch_load_b128 v[32:35], off, off offset:2072
	scratch_load_b64 v[0:1], off, off offset:1384
	s_waitcnt vmcnt(1)
	v_add_f64 v[52:53], v[34:35], v[152:153]
	s_waitcnt vmcnt(0)
	v_add_f64 v[50:51], v[32:33], v[0:1]
	s_clause 0x1
	scratch_load_b128 v[32:35], off, off offset:2056
	scratch_load_b64 v[0:1], off, off offset:1040
	s_waitcnt vmcnt(0)
	v_add_f64 v[20:21], v[32:33], v[0:1]
	scratch_load_b64 v[0:1], off, off offset:1016 ; 8-byte Folded Reload
	s_waitcnt vmcnt(0)
	v_add_f64 v[22:23], v[34:35], v[0:1]
	s_clause 0x1
	scratch_load_b128 v[32:35], off, off offset:2040
	scratch_load_b64 v[0:1], off, off offset:1056
	s_waitcnt vmcnt(0)
	v_add_f64 v[168:169], v[32:33], v[0:1]
	scratch_load_b64 v[0:1], off, off offset:1080 ; 8-byte Folded Reload
	s_waitcnt vmcnt(0)
	v_add_f64 v[170:171], v[34:35], v[0:1]
	scratch_load_b128 v[32:35], off, off offset:2024 ; 16-byte Folded Reload
	s_waitcnt vmcnt(0)
	v_add_f64 v[148:149], v[32:33], v[2:3]
	v_add_f64 v[150:151], v[34:35], v[126:127]
	s_clause 0x1
	scratch_load_b128 v[32:35], off, off offset:2136
	scratch_load_b64 v[0:1], off, off offset:1376
	s_waitcnt vmcnt(1)
	v_add_f64 v[154:155], v[34:35], v[154:155]
	s_waitcnt vmcnt(0)
	v_add_f64 v[152:153], v[32:33], v[0:1]
	s_clause 0x1
	scratch_load_b128 v[32:35], off, off offset:2120
	scratch_load_b64 v[0:1], off, off offset:1024
	s_waitcnt vmcnt(1)
	v_add_f64 v[56:57], v[32:33], v[172:173]
	s_waitcnt vmcnt(0)
	v_add_f64 v[58:59], v[34:35], v[0:1]
	s_clause 0x1
	scratch_load_b128 v[32:35], off, off offset:2104
	scratch_load_b64 v[0:1], off, off offset:1064
	s_waitcnt vmcnt(0)
	v_add_f64 v[176:177], v[32:33], v[0:1]
	scratch_load_b64 v[0:1], off, off offset:1264 ; 8-byte Folded Reload
	s_waitcnt vmcnt(0)
	v_add_f64 v[178:179], v[34:35], v[0:1]
	s_clause 0x1
	scratch_load_b128 v[32:35], off, off offset:2088
	scratch_load_b64 v[0:1], off, off offset:976
	s_waitcnt vmcnt(1)
	v_add_f64 v[124:125], v[32:33], v[10:11]
	v_add_f64 v[126:127], v[34:35], v[144:145]
	scratch_load_b128 v[32:35], off, off offset:2200 ; 16-byte Folded Reload
	s_waitcnt vmcnt(0)
	v_add_f64 v[184:185], v[32:33], v[156:157]
	v_add_f64 v[186:187], v[34:35], v[158:159]
	scratch_load_b128 v[32:35], off, off offset:2184 ; 16-byte Folded Reload
	s_waitcnt vmcnt(0)
	v_add_f64 v[180:181], v[32:33], v[174:175]
	v_add_f64 v[182:183], v[34:35], v[0:1]
	s_clause 0x3
	scratch_load_b128 v[32:35], off, off offset:2168
	scratch_load_b64 v[0:1], off, off offset:288
	scratch_load_b64 v[16:17], off, off offset:1472
	;; [unrolled: 1-line block ×3, first 2 shown]
	s_waitcnt vmcnt(2)
	v_add_f64 v[172:173], v[32:33], v[0:1]
	scratch_load_b64 v[0:1], off, off offset:848 ; 8-byte Folded Reload
	s_waitcnt vmcnt(0)
	v_add_f64 v[174:175], v[34:35], v[0:1]
	s_clause 0x1
	scratch_load_b128 v[32:35], off, off offset:2152
	scratch_load_b64 v[0:1], off, off offset:1464
	s_waitcnt vmcnt(1)
	v_add_f64 v[40:41], v[32:33], v[4:5]
	v_add_f64 v[42:43], v[34:35], v[146:147]
	s_clause 0x4
	scratch_load_b128 v[156:159], off, off offset:304
	scratch_load_b128 v[6:9], off, off offset:128
	;; [unrolled: 1-line block ×5, first 2 shown]
	s_waitcnt vmcnt(5)
	v_add_co_u32 v0, vcc_lo, v0, 8
	v_add_co_ci_u32_e32 v1, vcc_lo, 0, v1, vcc_lo
	v_add_co_u32 v16, vcc_lo, v16, 8
	v_add_co_ci_u32_e32 v17, vcc_lo, 0, v17, vcc_lo
	;; [unrolled: 2-line block ×3, first 2 shown]
	s_cbranch_scc1 .LBB0_37
; %bb.36:
	s_clause 0x5
	scratch_load_b128 v[106:109], off, off
	scratch_load_b128 v[94:97], off, off offset:208
	scratch_load_b128 v[68:71], off, off offset:144
	;; [unrolled: 1-line block ×5, first 2 shown]
	global_load_b64 v[32:33], v[0:1], off
	s_and_not1_b32 vcc_lo, exec_lo, s30
	scratch_store_b64 off, v[0:1], off offset:1464 ; 8-byte Folded Spill
	s_cbranch_vccz .LBB0_21
	s_branch .LBB0_29
.LBB0_37:
	s_clause 0x3
	scratch_store_b128 off, v[60:63], off offset:720
	scratch_store_b128 off, v[50:53], off offset:288
	;; [unrolled: 1-line block ×4, first 2 shown]
	s_clause 0x7
	scratch_load_b128 v[106:109], off, off
	scratch_load_b128 v[148:151], off, off offset:208
	scratch_load_b128 v[152:155], off, off offset:736
	;; [unrolled: 1-line block ×6, first 2 shown]
	scratch_load_b64 v[7:8], off, off offset:2240
	s_branch .LBB0_39
.LBB0_38:
	s_clause 0x1
	scratch_store_b128 off, v[152:155], off offset:480
	scratch_store_b128 off, v[148:151], off offset:464
	s_clause 0x3
	scratch_load_b128 v[152:155], off, off offset:736
	scratch_load_b128 v[56:59], off, off offset:1104
	;; [unrolled: 1-line block ×4, first 2 shown]
	s_waitcnt vmcnt(8)
	v_dual_mov_b32 v151, v97 :: v_dual_mov_b32 v150, v96
	v_dual_mov_b32 v149, v95 :: v_dual_mov_b32 v148, v94
.LBB0_39:
	scratch_store_b128 off, v[20:23], off offset:512 ; 16-byte Folded Spill
	s_waitcnt vmcnt(1)
	s_clause 0x2
	scratch_store_b128 off, v[188:191], off offset:272
	scratch_store_b128 off, v[46:49], off offset:816
	;; [unrolled: 1-line block ×3, first 2 shown]
; %bb.40:
	scratch_load_b64 v[0:1], off, off offset:2216 ; 8-byte Folded Reload
	s_waitcnt vmcnt(1)
	v_add_co_u32 v32, vcc_lo, s10, v7
	v_add_co_ci_u32_e32 v33, vcc_lo, s11, v8, vcc_lo
	v_dual_mov_b32 v60, v124 :: v_dual_mov_b32 v61, v125
	v_dual_mov_b32 v12, v40 :: v_dual_mov_b32 v13, v41
	;; [unrolled: 1-line block ×6, first 2 shown]
	s_cmp_lt_i32 s3, 1
	s_waitcnt vmcnt(0)
	global_store_b64 v[32:33], v[0:1], off
	scratch_load_b64 v[0:1], off, off offset:2232 ; 8-byte Folded Reload
	s_cbranch_scc1 .LBB0_53
; %bb.41:
	s_waitcnt vmcnt(0)
	v_mul_lo_u32 v32, v0, s3
	s_clause 0x1
	s_load_b32 s4, s[0:1], 0x78
	s_load_b64 s[0:1], s[0:1], 0x80
	s_cmp_lg_u32 s3, 0
	s_delay_alu instid0(VALU_DEP_1) | instskip(NEXT) | instid1(VALU_DEP_1)
	v_ashrrev_i32_e32 v33, 31, v32
	v_lshlrev_b64 v[32:33], 3, v[32:33]
	s_delay_alu instid0(VALU_DEP_1) | instskip(NEXT) | instid1(VALU_DEP_2)
	v_add_co_u32 v34, vcc_lo, s8, v32
	v_add_co_ci_u32_e32 v35, vcc_lo, s9, v33, vcc_lo
	s_cselect_b32 vcc_lo, -1, 0
	s_waitcnt lgkmcnt(0)
	v_add_co_u32 v92, s0, s0, v32
	s_bitcmp1_b32 s4, 0
	v_add_co_ci_u32_e64 v93, s0, s1, v33, s0
	v_dual_cndmask_b32 v103, 0, v35 :: v_dual_cndmask_b32 v102, 0, v34
	s_cselect_b32 s0, -1, 0
	s_cmp_lg_u32 s2, 0
	s_cselect_b32 s1, -1, 0
	s_lshl_b32 s2, s2, 1
	s_branch .LBB0_44
.LBB0_42:                               ;   in Loop: Header=BB0_44 Depth=1
	scratch_load_b128 v[188:191], off, off offset:368 ; 16-byte Folded Reload
	v_dual_mov_b32 v48, v148 :: v_dual_mov_b32 v49, v149
	v_dual_mov_b32 v94, v144 :: v_dual_mov_b32 v95, v145
	;; [unrolled: 1-line block ×4, first 2 shown]
.LBB0_43:                               ;   in Loop: Header=BB0_44 Depth=1
	s_clause 0x3
	scratch_load_b128 v[32:35], off, off offset:336
	scratch_load_b128 v[36:39], off, off offset:320
	;; [unrolled: 1-line block ×4, first 2 shown]
	v_dual_mov_b32 v12, v40 :: v_dual_mov_b32 v13, v41
	v_dual_mov_b32 v14, v42 :: v_dual_mov_b32 v15, v43
	scratch_load_b128 v[106:109], off, off  ; 16-byte Folded Reload
	v_dual_mov_b32 v60, v124 :: v_dual_mov_b32 v61, v125
	v_dual_mov_b32 v62, v126 :: v_dual_mov_b32 v63, v127
	s_clause 0x1
	scratch_load_b128 v[4:7], off, off offset:688
	scratch_load_b128 v[8:11], off, off offset:784
	v_dual_mov_b32 v151, v51 :: v_dual_mov_b32 v150, v50
	v_dual_mov_b32 v149, v49 :: v_dual_mov_b32 v148, v48
	;; [unrolled: 1-line block ×4, first 2 shown]
	s_mov_b32 m0, s2
	v_add_co_u32 v92, vcc_lo, v92, 8
	v_add_co_ci_u32_e32 v93, vcc_lo, 0, v93, vcc_lo
	s_waitcnt vmcnt(7)
	v_add_co_u32 v102, vcc_lo, v102, 8
	v_add_co_ci_u32_e32 v103, vcc_lo, 0, v103, vcc_lo
	s_add_i32 s3, s3, -1
	scratch_load_b128 v[124:127], off, off offset:48 ; 16-byte Folded Reload
	s_cmp_lg_u32 s3, 0
	s_clause 0x2
	scratch_load_b128 v[40:43], off, off offset:224
	scratch_load_b128 v[28:31], off, off offset:432
	;; [unrolled: 1-line block ×3, first 2 shown]
	s_waitcnt vmcnt(10)
	v_fma_f64 v[32:33], v[68:69], v[32:33], 0
	v_fma_f64 v[34:35], v[68:69], v[34:35], 0
	s_waitcnt vmcnt(9)
	v_fma_f64 v[36:37], v[68:69], v[36:37], 0
	v_fma_f64 v[38:39], v[68:69], v[38:39], 0
	;; [unrolled: 3-line block ×4, first 2 shown]
	v_fma_f64 v[34:35], v[70:71], v[18:19], v[34:35]
	scratch_load_b128 v[16:19], off, off offset:32 ; 16-byte Folded Reload
	v_fma_f64 v[44:45], v[70:71], v[124:125], v[44:45]
	v_fma_f64 v[32:33], v[72:73], v[0:1], v[32:33]
	;; [unrolled: 1-line block ×3, first 2 shown]
	scratch_load_b128 v[0:3], off, off offset:64 ; 16-byte Folded Reload
	v_fma_f64 v[44:45], v[72:73], v[144:145], v[44:45]
	s_waitcnt vmcnt(1)
	v_fma_f64 v[36:37], v[70:71], v[16:17], v[36:37]
	v_fma_f64 v[38:39], v[70:71], v[18:19], v[38:39]
	scratch_load_b128 v[16:19], off, off offset:16 ; 16-byte Folded Reload
	v_fma_f64 v[40:41], v[70:71], v[106:107], v[40:41]
	v_fma_f64 v[42:43], v[70:71], v[108:109], v[42:43]
	s_waitcnt vmcnt(1)
	v_fma_f64 v[32:33], v[74:75], v[0:1], v[32:33]
	v_fma_f64 v[34:35], v[74:75], v[2:3], v[34:35]
	scratch_load_b128 v[0:3], off, off offset:352 ; 16-byte Folded Reload
	v_fma_f64 v[40:41], v[72:73], v[148:149], v[40:41]
	v_fma_f64 v[42:43], v[72:73], v[150:151], v[42:43]
	s_waitcnt vmcnt(1)
	s_delay_alu instid0(VALU_DEP_2) | instskip(NEXT) | instid1(VALU_DEP_2)
	v_fma_f64 v[40:41], v[74:75], v[16:17], v[40:41]
	v_fma_f64 v[42:43], v[74:75], v[18:19], v[42:43]
	scratch_load_b128 v[16:19], off, off offset:672 ; 16-byte Folded Reload
	s_waitcnt vmcnt(1)
	v_fma_f64 v[32:33], v[76:77], v[0:1], v[32:33]
	v_fma_f64 v[34:35], v[76:77], v[2:3], v[34:35]
	scratch_load_b128 v[0:3], off, off offset:800 ; 16-byte Folded Reload
	s_waitcnt vmcnt(1)
	v_fma_f64 v[44:45], v[74:75], v[16:17], v[44:45]
	v_fma_f64 v[16:17], v[68:69], v[46:47], 0
	s_waitcnt vmcnt(0)
	v_fma_f64 v[32:33], v[78:79], v[0:1], v[32:33]
	v_fma_f64 v[34:35], v[78:79], v[2:3], v[34:35]
	scratch_load_b128 v[0:3], off, off offset:400 ; 16-byte Folded Reload
	v_fma_f64 v[16:17], v[70:71], v[126:127], v[16:17]
	s_delay_alu instid0(VALU_DEP_1) | instskip(NEXT) | instid1(VALU_DEP_1)
	v_fma_f64 v[16:17], v[72:73], v[146:147], v[16:17]
	v_fma_f64 v[16:17], v[74:75], v[18:19], v[16:17]
	s_waitcnt vmcnt(0)
	v_fma_f64 v[32:33], v[80:81], v[0:1], v[32:33]
	v_fma_f64 v[34:35], v[80:81], v[2:3], v[34:35]
	scratch_load_b128 v[0:3], off, off offset:256 ; 16-byte Folded Reload
	v_fma_f64 v[32:33], v[82:83], v[20:21], v[32:33]
	v_fma_f64 v[34:35], v[82:83], v[22:23], v[34:35]
	scratch_load_b128 v[20:23], off, off offset:96 ; 16-byte Folded Reload
	s_waitcnt vmcnt(0)
	v_fma_f64 v[36:37], v[72:73], v[20:21], v[36:37]
	v_fma_f64 v[38:39], v[72:73], v[22:23], v[38:39]
	s_delay_alu instid0(VALU_DEP_2) | instskip(NEXT) | instid1(VALU_DEP_2)
	v_fma_f64 v[36:37], v[74:75], v[0:1], v[36:37]
	v_fma_f64 v[38:39], v[74:75], v[2:3], v[38:39]
	scratch_load_b128 v[0:3], off, off offset:768 ; 16-byte Folded Reload
	v_fma_f64 v[36:37], v[76:77], v[4:5], v[36:37]
	v_fma_f64 v[38:39], v[76:77], v[6:7], v[38:39]
	scratch_load_b128 v[4:7], off, off offset:416 ; 16-byte Folded Reload
	;; [unrolled: 3-line block ×3, first 2 shown]
	v_fma_f64 v[36:37], v[80:81], v[152:153], v[36:37]
	v_fma_f64 v[38:39], v[80:81], v[154:155], v[38:39]
	s_delay_alu instid0(VALU_DEP_2) | instskip(NEXT) | instid1(VALU_DEP_2)
	v_fma_f64 v[36:37], v[82:83], v[28:29], v[36:37]
	v_fma_f64 v[38:39], v[82:83], v[30:31], v[38:39]
	s_waitcnt vmcnt(0)
	v_fma_f64 v[42:43], v[76:77], v[10:11], v[42:43]
	v_fma_f64 v[40:41], v[76:77], v[8:9], v[40:41]
	s_delay_alu instid0(VALU_DEP_2) | instskip(NEXT) | instid1(VALU_DEP_2)
	v_fma_f64 v[42:43], v[78:79], v[2:3], v[42:43]
	v_fma_f64 v[40:41], v[78:79], v[0:1], v[40:41]
	scratch_load_b128 v[0:3], off, off offset:384 ; 16-byte Folded Reload
	v_fma_f64 v[42:43], v[80:81], v[158:159], v[42:43]
	v_fma_f64 v[40:41], v[80:81], v[156:157], v[40:41]
	s_delay_alu instid0(VALU_DEP_2)
	v_fma_f64 v[42:43], v[82:83], v[6:7], v[42:43]
	scratch_load_b128 v[6:9], off, off offset:80 ; 16-byte Folded Reload
	v_fma_f64 v[40:41], v[82:83], v[4:5], v[40:41]
	s_waitcnt vmcnt(0)
	v_fma_f64 v[44:45], v[76:77], v[6:7], v[44:45]
	scratch_load_b128 v[4:7], off, off offset:704 ; 16-byte Folded Reload
	v_fma_f64 v[16:17], v[76:77], v[8:9], v[16:17]
	v_fma_f64 v[44:45], v[78:79], v[188:189], v[44:45]
	s_delay_alu instid0(VALU_DEP_2) | instskip(NEXT) | instid1(VALU_DEP_2)
	v_fma_f64 v[16:17], v[78:79], v[190:191], v[16:17]
	v_fma_f64 v[44:45], v[80:81], v[0:1], v[44:45]
	scratch_load_b64 v[0:1], off, off offset:1456 ; 8-byte Folded Reload
	v_fma_f64 v[16:17], v[80:81], v[2:3], v[16:17]
	s_waitcnt vmcnt(1)
	v_fma_f64 v[44:45], v[82:83], v[4:5], v[44:45]
	s_delay_alu instid0(VALU_DEP_2) | instskip(SKIP_3) | instid1(VALU_DEP_1)
	v_fma_f64 v[46:47], v[82:83], v[6:7], v[16:17]
	v_movrels_b32_e32 v17, v33
	v_movrels_b32_e32 v16, v32
	s_waitcnt vmcnt(0)
	v_add_f64 v[16:17], v[0:1], v[16:17]
	s_delay_alu instid0(VALU_DEP_1) | instskip(NEXT) | instid1(VALU_DEP_2)
	v_movreld_b32_e32 v32, v16
	v_movreld_b32_e32 v33, v17
	v_dual_mov_b32 v83, v47 :: v_dual_mov_b32 v82, v46
	v_dual_mov_b32 v81, v45 :: v_dual_mov_b32 v80, v44
	;; [unrolled: 1-line block ×8, first 2 shown]
	s_cbranch_scc0 .LBB0_53
.LBB0_44:                               ; =>This Inner Loop Header: Depth=1
	s_and_not1_b32 vcc_lo, exec_lo, s1
	s_cbranch_vccnz .LBB0_46
; %bb.45:                               ;   in Loop: Header=BB0_44 Depth=1
	s_clause 0x3
	scratch_load_b128 v[32:35], off, off offset:544
	scratch_load_b128 v[36:39], off, off offset:560
	scratch_load_b128 v[40:43], off, off offset:576
	scratch_load_b128 v[44:47], off, off offset:592
	s_mov_b32 s4, 0
	s_waitcnt vmcnt(3)
	v_fma_f64 v[32:33], v[68:69], v[32:33], 0
	s_delay_alu instid0(VALU_DEP_1) | instskip(SKIP_1) | instid1(VALU_DEP_1)
	v_fma_f64 v[32:33], v[70:71], v[34:35], v[32:33]
	s_waitcnt vmcnt(2)
	v_fma_f64 v[32:33], v[72:73], v[36:37], v[32:33]
	s_delay_alu instid0(VALU_DEP_1) | instskip(SKIP_1) | instid1(VALU_DEP_1)
	v_fma_f64 v[32:33], v[74:75], v[38:39], v[32:33]
	;; [unrolled: 4-line block ×3, first 2 shown]
	s_waitcnt vmcnt(0)
	v_fma_f64 v[32:33], v[80:81], v[44:45], v[32:33]
	s_delay_alu instid0(VALU_DEP_1)
	v_fma_f64 v[32:33], v[82:83], v[46:47], v[32:33]
	global_store_b64 v[102:103], v[32:33], off
	s_branch .LBB0_47
.LBB0_46:                               ;   in Loop: Header=BB0_44 Depth=1
	s_mov_b32 s4, -1
.LBB0_47:                               ;   in Loop: Header=BB0_44 Depth=1
	scratch_load_b128 v[20:23], off, off offset:448 ; 16-byte Folded Reload
	v_dual_mov_b32 v43, v15 :: v_dual_mov_b32 v42, v14
	v_dual_mov_b32 v127, v63 :: v_dual_mov_b32 v126, v62
	;; [unrolled: 1-line block ×4, first 2 shown]
	s_and_not1_b32 vcc_lo, exec_lo, s4
	s_cbranch_vccnz .LBB0_49
; %bb.48:                               ;   in Loop: Header=BB0_44 Depth=1
	global_store_b64 v[102:103], v[68:69], off
.LBB0_49:                               ;   in Loop: Header=BB0_44 Depth=1
	s_and_not1_b32 vcc_lo, exec_lo, s0
	s_cbranch_vccnz .LBB0_42
; %bb.50:                               ;   in Loop: Header=BB0_44 Depth=1
	s_clause 0x5
	scratch_store_b64 off, v[102:103], off offset:880
	scratch_store_b64 off, v[92:93], off offset:864
	scratch_store_b128 off, v[68:71], off offset:144
	scratch_store_b128 off, v[72:75], off offset:160
	;; [unrolled: 1-line block ×4, first 2 shown]
	v_dual_mov_b32 v28, v52 :: v_dual_mov_b32 v29, v53
	s_clause 0x2
	scratch_load_b128 v[48:51], off, off offset:464
	scratch_load_b128 v[72:75], off, off offset:480
	;; [unrolled: 1-line block ×3, first 2 shown]
	v_dual_mov_b32 v30, v54 :: v_dual_mov_b32 v31, v55
	s_clause 0x5
	scratch_load_b128 v[36:39], off, off offset:512
	scratch_load_b128 v[44:47], off, off offset:816
	;; [unrolled: 1-line block ×6, first 2 shown]
	v_dual_mov_b32 v60, v84 :: v_dual_mov_b32 v61, v85
	v_dual_mov_b32 v62, v86 :: v_dual_mov_b32 v63, v87
	s_clause 0x1
	scratch_load_b128 v[84:87], off, off offset:624
	scratch_load_b128 v[24:27], off, off offset:640
	v_dual_mov_b32 v191, v147 :: v_dual_mov_b32 v190, v146
	v_dual_mov_b32 v189, v145 :: v_dual_mov_b32 v188, v144
	;; [unrolled: 1-line block ×3, first 2 shown]
	s_and_not1_b32 vcc_lo, exec_lo, s1
	s_cbranch_vccnz .LBB0_52
; %bb.51:                               ;   in Loop: Header=BB0_44 Depth=1
	s_clause 0x4
	scratch_load_b128 v[0:3], off, off offset:544
	scratch_load_b128 v[4:7], off, off offset:560
	;; [unrolled: 1-line block ×5, first 2 shown]
	s_waitcnt vmcnt(4)
	v_mul_f64 v[32:33], v[0:1], v[140:141]
	v_mul_f64 v[34:35], v[0:1], v[136:137]
	s_delay_alu instid0(VALU_DEP_2) | instskip(NEXT) | instid1(VALU_DEP_1)
	v_fma_f64 v[32:33], v[0:1], v[32:33], 0
	v_fma_f64 v[32:33], v[2:3], v[34:35], v[32:33]
	v_mul_f64 v[34:35], v[0:1], v[132:133]
	s_waitcnt vmcnt(3)
	s_delay_alu instid0(VALU_DEP_1) | instskip(SKIP_1) | instid1(VALU_DEP_1)
	v_fma_f64 v[32:33], v[4:5], v[34:35], v[32:33]
	v_mul_f64 v[34:35], v[0:1], v[128:129]
	v_fma_f64 v[32:33], v[6:7], v[34:35], v[32:33]
	v_mul_f64 v[34:35], v[0:1], v[60:61]
	s_waitcnt vmcnt(2)
	s_delay_alu instid0(VALU_DEP_1) | instskip(SKIP_1) | instid1(VALU_DEP_1)
	v_fma_f64 v[32:33], v[8:9], v[34:35], v[32:33]
	v_mul_f64 v[34:35], v[0:1], v[52:53]
	;; [unrolled: 6-line block ×3, first 2 shown]
	v_fma_f64 v[32:33], v[14:15], v[34:35], v[32:33]
	v_mul_f64 v[34:35], v[2:3], v[142:143]
	s_delay_alu instid0(VALU_DEP_1) | instskip(SKIP_1) | instid1(VALU_DEP_1)
	v_fma_f64 v[32:33], v[0:1], v[34:35], v[32:33]
	v_mul_f64 v[34:35], v[2:3], v[138:139]
	v_fma_f64 v[32:33], v[2:3], v[34:35], v[32:33]
	v_mul_f64 v[34:35], v[2:3], v[134:135]
	s_delay_alu instid0(VALU_DEP_1) | instskip(SKIP_1) | instid1(VALU_DEP_1)
	v_fma_f64 v[32:33], v[4:5], v[34:35], v[32:33]
	v_mul_f64 v[34:35], v[2:3], v[130:131]
	v_fma_f64 v[32:33], v[6:7], v[34:35], v[32:33]
	v_mul_f64 v[34:35], v[2:3], v[62:63]
	s_delay_alu instid0(VALU_DEP_1) | instskip(SKIP_1) | instid1(VALU_DEP_1)
	v_fma_f64 v[32:33], v[8:9], v[34:35], v[32:33]
	v_mul_f64 v[34:35], v[2:3], v[54:55]
	v_fma_f64 v[32:33], v[10:11], v[34:35], v[32:33]
	v_mul_f64 v[34:35], v[2:3], v[74:75]
	s_delay_alu instid0(VALU_DEP_1) | instskip(SKIP_1) | instid1(VALU_DEP_1)
	v_fma_f64 v[32:33], v[12:13], v[34:35], v[32:33]
	v_mul_f64 v[34:35], v[2:3], v[186:187]
	v_fma_f64 v[32:33], v[14:15], v[34:35], v[32:33]
	v_mul_f64 v[34:35], v[4:5], v[110:111]
	s_delay_alu instid0(VALU_DEP_1) | instskip(SKIP_1) | instid1(VALU_DEP_1)
	v_fma_f64 v[32:33], v[0:1], v[34:35], v[32:33]
	v_mul_f64 v[34:35], v[4:5], v[120:121]
	v_fma_f64 v[32:33], v[2:3], v[34:35], v[32:33]
	v_mul_f64 v[34:35], v[4:5], v[116:117]
	s_delay_alu instid0(VALU_DEP_1) | instskip(SKIP_1) | instid1(VALU_DEP_1)
	v_fma_f64 v[32:33], v[4:5], v[34:35], v[32:33]
	v_mul_f64 v[34:35], v[4:5], v[24:25]
	v_fma_f64 v[32:33], v[6:7], v[34:35], v[32:33]
	v_mul_f64 v[34:35], v[4:5], v[44:45]
	s_delay_alu instid0(VALU_DEP_1) | instskip(SKIP_1) | instid1(VALU_DEP_1)
	v_fma_f64 v[32:33], v[8:9], v[34:35], v[32:33]
	v_mul_f64 v[34:35], v[4:5], v[36:37]
	v_fma_f64 v[32:33], v[10:11], v[34:35], v[32:33]
	v_mul_f64 v[34:35], v[4:5], v[56:57]
	s_delay_alu instid0(VALU_DEP_1) | instskip(SKIP_1) | instid1(VALU_DEP_1)
	v_fma_f64 v[32:33], v[12:13], v[34:35], v[32:33]
	v_mul_f64 v[34:35], v[4:5], v[180:181]
	v_fma_f64 v[32:33], v[14:15], v[34:35], v[32:33]
	v_mul_f64 v[34:35], v[6:7], v[112:113]
	s_delay_alu instid0(VALU_DEP_1) | instskip(SKIP_1) | instid1(VALU_DEP_1)
	v_fma_f64 v[32:33], v[0:1], v[34:35], v[32:33]
	v_mul_f64 v[34:35], v[6:7], v[122:123]
	v_fma_f64 v[32:33], v[2:3], v[34:35], v[32:33]
	v_mul_f64 v[34:35], v[6:7], v[118:119]
	s_delay_alu instid0(VALU_DEP_1) | instskip(SKIP_1) | instid1(VALU_DEP_1)
	v_fma_f64 v[32:33], v[4:5], v[34:35], v[32:33]
	v_mul_f64 v[34:35], v[6:7], v[26:27]
	v_fma_f64 v[32:33], v[6:7], v[34:35], v[32:33]
	v_mul_f64 v[34:35], v[6:7], v[46:47]
	s_delay_alu instid0(VALU_DEP_1) | instskip(SKIP_1) | instid1(VALU_DEP_1)
	v_fma_f64 v[32:33], v[8:9], v[34:35], v[32:33]
	v_mul_f64 v[34:35], v[6:7], v[38:39]
	v_fma_f64 v[32:33], v[10:11], v[34:35], v[32:33]
	v_mul_f64 v[34:35], v[6:7], v[58:59]
	s_delay_alu instid0(VALU_DEP_1) | instskip(SKIP_1) | instid1(VALU_DEP_1)
	v_fma_f64 v[32:33], v[12:13], v[34:35], v[32:33]
	v_mul_f64 v[34:35], v[6:7], v[182:183]
	v_fma_f64 v[32:33], v[14:15], v[34:35], v[32:33]
	v_mul_f64 v[34:35], v[8:9], v[164:165]
	s_delay_alu instid0(VALU_DEP_1) | instskip(SKIP_1) | instid1(VALU_DEP_1)
	v_fma_f64 v[32:33], v[0:1], v[34:35], v[32:33]
	v_mul_f64 v[34:35], v[8:9], v[88:89]
	v_fma_f64 v[32:33], v[2:3], v[34:35], v[32:33]
	v_mul_f64 v[34:35], v[8:9], v[98:99]
	s_delay_alu instid0(VALU_DEP_1) | instskip(SKIP_1) | instid1(VALU_DEP_1)
	v_fma_f64 v[32:33], v[4:5], v[34:35], v[32:33]
	v_mul_f64 v[34:35], v[8:9], v[64:65]
	v_fma_f64 v[32:33], v[6:7], v[34:35], v[32:33]
	s_waitcnt vmcnt(0)
	v_mul_f64 v[34:35], v[8:9], v[16:17]
	s_delay_alu instid0(VALU_DEP_1) | instskip(SKIP_1) | instid1(VALU_DEP_1)
	v_fma_f64 v[32:33], v[8:9], v[34:35], v[32:33]
	v_mul_f64 v[34:35], v[8:9], v[28:29]
	v_fma_f64 v[32:33], v[10:11], v[34:35], v[32:33]
	v_mul_f64 v[34:35], v[8:9], v[176:177]
	s_delay_alu instid0(VALU_DEP_1) | instskip(SKIP_1) | instid1(VALU_DEP_1)
	v_fma_f64 v[32:33], v[12:13], v[34:35], v[32:33]
	v_mul_f64 v[34:35], v[8:9], v[172:173]
	v_fma_f64 v[32:33], v[14:15], v[34:35], v[32:33]
	;; [unrolled: 5-line block ×14, first 2 shown]
.LBB0_52:                               ;   in Loop: Header=BB0_44 Depth=1
	scratch_store_b64 off, v[0:1], off offset:896 ; 8-byte Folded Spill
	s_waitcnt vmcnt(3)
	scratch_store_b128 off, v[76:79], off offset:272 ; 16-byte Folded Spill
	s_clause 0x3
	scratch_load_b128 v[76:79], off, off offset:336
	scratch_load_b128 v[10:13], off, off offset:320
	scratch_load_b128 v[102:105], off, off offset:112
	scratch_load_b128 v[14:17], off, off offset:32
	s_clause 0x4
	scratch_store_b128 off, v[36:39], off offset:512
	scratch_store_b128 off, v[48:51], off offset:464
	;; [unrolled: 1-line block ×5, first 2 shown]
	v_dual_mov_b32 v4, v60 :: v_dual_mov_b32 v5, v61
	scratch_load_b128 v[28:31], off, off offset:224 ; 16-byte Folded Reload
	v_dual_mov_b32 v6, v62 :: v_dual_mov_b32 v7, v63
	s_clause 0x2
	scratch_load_b128 v[60:63], off, off offset:656
	scratch_load_b128 v[92:95], off, off offset:48
	;; [unrolled: 1-line block ×3, first 2 shown]
	v_dual_mov_b32 v0, v180 :: v_dual_mov_b32 v1, v181
	v_dual_mov_b32 v2, v182 :: v_dual_mov_b32 v3, v183
	;; [unrolled: 1-line block ×3, first 2 shown]
	s_clause 0x1
	scratch_store_b128 off, v[40:43], off offset:752
	scratch_store_b128 off, v[72:75], off offset:480
	v_dual_mov_b32 v181, v45 :: v_dual_mov_b32 v180, v44
	v_dual_mov_b32 v20, v106 :: v_dual_mov_b32 v21, v107
	;; [unrolled: 1-line block ×3, first 2 shown]
	scratch_store_b128 off, v[172:175], off offset:832 ; 16-byte Folded Spill
	s_waitcnt vmcnt(7)
	v_fma_f64 v[32:33], v[76:77], v[140:141], 0
	v_fma_f64 v[34:35], v[78:79], v[140:141], 0
	s_waitcnt vmcnt(6)
	v_fma_f64 v[36:37], v[10:11], v[140:141], 0
	v_fma_f64 v[38:39], v[12:13], v[140:141], 0
	;; [unrolled: 1-line block ×6, first 2 shown]
	s_waitcnt vmcnt(3)
	v_fma_f64 v[40:41], v[28:29], v[140:141], 0
	v_fma_f64 v[42:43], v[30:31], v[140:141], 0
	;; [unrolled: 1-line block ×3, first 2 shown]
	s_waitcnt vmcnt(2)
	v_fma_f64 v[44:45], v[60:61], v[140:141], 0
	v_fma_f64 v[46:47], v[62:63], v[140:141], 0
	;; [unrolled: 1-line block ×10, first 2 shown]
	v_dual_mov_b32 v10, v20 :: v_dual_mov_b32 v11, v21
	v_dual_mov_b32 v12, v22 :: v_dual_mov_b32 v13, v23
	v_fma_f64 v[144:145], v[102:103], v[142:143], v[32:33]
	v_fma_f64 v[34:35], v[104:105], v[142:143], v[34:35]
	;; [unrolled: 1-line block ×7, first 2 shown]
	s_waitcnt vmcnt(1)
	v_fma_f64 v[44:45], v[92:93], v[142:143], v[44:45]
	v_fma_f64 v[46:47], v[94:95], v[142:143], v[46:47]
	;; [unrolled: 1-line block ×12, first 2 shown]
	s_waitcnt vmcnt(0)
	v_fma_f64 v[36:37], v[50:51], v[110:111], v[36:37]
	v_fma_f64 v[38:39], v[52:53], v[110:111], v[38:39]
	;; [unrolled: 1-line block ×5, first 2 shown]
	scratch_store_b64 off, v[8:9], off offset:904 ; 8-byte Folded Spill
	v_fma_f64 v[8:9], v[104:105], v[138:139], v[142:143]
	v_fma_f64 v[142:143], v[16:17], v[138:139], v[150:151]
	v_fma_f64 v[150:151], v[108:109], v[138:139], v[154:155]
	v_fma_f64 v[136:137], v[94:95], v[138:139], v[136:137]
	v_fma_f64 v[138:139], v[76:77], v[132:133], 0
	v_dual_mov_b32 v109, v91 :: v_dual_mov_b32 v108, v90
	v_dual_mov_b32 v107, v89 :: v_dual_mov_b32 v106, v88
	v_dual_mov_b32 v88, v164 :: v_dual_mov_b32 v89, v165
	v_dual_mov_b32 v90, v166 :: v_dual_mov_b32 v91, v167
	v_fma_f64 v[164:165], v[28:29], v[132:133], 0
	v_fma_f64 v[166:167], v[30:31], v[132:133], 0
	;; [unrolled: 1-line block ×5, first 2 shown]
	scratch_load_b128 v[160:163], off, off offset:16 ; 16-byte Folded Reload
	scratch_store_b64 off, v[8:9], off offset:912 ; 8-byte Folded Spill
	v_fma_f64 v[142:143], v[52:53], v[120:121], v[142:143]
	v_fma_f64 v[8:9], v[102:103], v[134:135], v[138:139]
	v_fma_f64 v[138:139], v[104:105], v[134:135], v[158:159]
	v_fma_f64 v[96:97], v[20:21], v[134:135], v[164:165]
	v_fma_f64 v[158:159], v[22:23], v[134:135], v[166:167]
	v_fma_f64 v[18:19], v[94:95], v[134:135], v[132:133]
	v_dual_mov_b32 v167, v3 :: v_dual_mov_b32 v166, v2
	v_dual_mov_b32 v165, v1 :: v_dual_mov_b32 v164, v0
	scratch_load_b64 v[0:1], off, off offset:904 ; 8-byte Folded Reload
	v_fma_f64 v[154:155], v[52:53], v[116:117], v[154:155]
	scratch_store_b64 off, v[8:9], off offset:920 ; 8-byte Folded Spill
	v_fma_f64 v[8:9], v[92:93], v[134:135], v[168:169]
	v_fma_f64 v[134:135], v[76:77], v[128:129], 0
	v_dual_mov_b32 v168, v176 :: v_dual_mov_b32 v169, v177
	v_dual_mov_b32 v170, v178 :: v_dual_mov_b32 v171, v179
	v_fma_f64 v[176:177], v[28:29], v[128:129], 0
	v_fma_f64 v[178:179], v[30:31], v[128:129], 0
	scratch_load_b128 v[76:79], off, off offset:64 ; 16-byte Folded Reload
	v_fma_f64 v[128:129], v[62:63], v[128:129], 0
	scratch_load_b128 v[28:31], off, off offset:784 ; 16-byte Folded Reload
	v_fma_f64 v[134:135], v[102:103], v[130:131], v[134:135]
	scratch_load_b128 v[102:105], off, off offset:240 ; 16-byte Folded Reload
	v_fma_f64 v[22:23], v[10:11], v[130:131], v[176:177]
	v_fma_f64 v[20:21], v[12:13], v[130:131], v[178:179]
	scratch_load_b128 v[12:15], off, off offset:208 ; 16-byte Folded Reload
	v_fma_f64 v[16:17], v[94:95], v[130:131], v[128:129]
	scratch_load_b128 v[176:179], off, off offset:256 ; 16-byte Folded Reload
	s_waitcnt vmcnt(2)
	v_fma_f64 v[10:11], v[102:103], v[120:121], v[0:1]
	scratch_load_b64 v[0:1], off, off offset:912 ; 8-byte Folded Reload
	v_fma_f64 v[130:131], v[102:103], v[110:111], v[144:145]
	v_dual_mov_b32 v147, v127 :: v_dual_mov_b32 v146, v126
	v_dual_mov_b32 v145, v125 :: v_dual_mov_b32 v144, v124
	;; [unrolled: 1-line block ×4, first 2 shown]
	scratch_load_b128 v[188:191], off, off offset:672 ; 16-byte Folded Reload
	v_fma_f64 v[34:35], v[104:105], v[110:111], v[34:35]
	s_waitcnt vmcnt(3)
	v_fma_f64 v[20:21], v[14:15], v[24:25], v[20:21]
	v_fma_f64 v[2:3], v[12:13], v[24:25], v[22:23]
	;; [unrolled: 1-line block ×16, first 2 shown]
	s_waitcnt vmcnt(1)
	v_fma_f64 v[130:131], v[104:105], v[120:121], v[0:1]
	scratch_load_b64 v[0:1], off, off offset:920 ; 8-byte Folded Reload
	v_fma_f64 v[120:121], v[128:129], v[120:121], v[136:137]
	v_fma_f64 v[174:175], v[78:79], v[122:123], v[130:131]
	v_dual_mov_b32 v133, v79 :: v_dual_mov_b32 v132, v78
	v_dual_mov_b32 v131, v77 :: v_dual_mov_b32 v130, v76
	v_fma_f64 v[78:79], v[162:163], v[26:27], v[20:21]
	scratch_load_b128 v[20:23], off, off offset:352 ; 16-byte Folded Reload
	v_fma_f64 v[136:137], v[176:177], v[122:123], v[140:141]
	v_fma_f64 v[140:141], v[178:179], v[122:123], v[142:143]
	;; [unrolled: 1-line block ×4, first 2 shown]
	scratch_load_b128 v[74:77], off, off offset:768 ; 16-byte Folded Reload
	s_waitcnt vmcnt(3)
	v_fma_f64 v[72:73], v[188:189], v[122:123], v[152:153]
	v_fma_f64 v[120:121], v[190:191], v[122:123], v[120:121]
	;; [unrolled: 1-line block ×13, first 2 shown]
	s_delay_alu instid0(VALU_DEP_3)
	v_fma_f64 v[112:113], v[190:191], v[26:27], v[112:113]
	s_waitcnt vmcnt(2)
	v_fma_f64 v[122:123], v[102:103], v[116:117], v[0:1]
	v_fma_f64 v[116:117], v[128:129], v[116:117], v[18:19]
	;; [unrolled: 1-line block ×5, first 2 shown]
	scratch_load_b128 v[150:153], off, off offset:368 ; 16-byte Folded Reload
	v_fma_f64 v[96:97], v[130:131], v[118:119], v[122:123]
	v_fma_f64 v[116:117], v[190:191], v[118:119], v[116:117]
	scratch_store_b64 off, v[0:1], off offset:904 ; 8-byte Folded Spill
	v_fma_f64 v[0:1], v[162:163], v[118:119], v[158:159]
	v_fma_f64 v[118:119], v[102:103], v[24:25], v[134:135]
	;; [unrolled: 1-line block ×3, first 2 shown]
	scratch_load_b128 v[156:159], off, off offset:128 ; 16-byte Folded Reload
	s_waitcnt vmcnt(3)
	v_fma_f64 v[114:115], v[20:21], v[88:89], v[124:125]
	scratch_load_b128 v[122:125], off, off offset:800 ; 16-byte Folded Reload
	v_fma_f64 v[34:35], v[22:23], v[88:89], v[34:35]
	v_fma_f64 v[110:111], v[20:21], v[106:107], v[110:111]
	scratch_store_b64 off, v[0:1], off offset:912 ; 8-byte Folded Spill
	v_fma_f64 v[0:1], v[52:53], v[24:25], v[48:49]
	scratch_load_b128 v[46:49], off, off offset:80 ; 16-byte Folded Reload
	v_fma_f64 v[12:13], v[132:133], v[26:27], v[134:135]
	v_fma_f64 v[134:135], v[176:177], v[26:27], v[18:19]
	scratch_load_b128 v[16:19], off, off offset:688 ; 16-byte Folded Reload
	v_fma_f64 v[118:119], v[130:131], v[26:27], v[118:119]
	v_fma_f64 v[14:15], v[178:179], v[26:27], v[0:1]
	;; [unrolled: 1-line block ×3, first 2 shown]
	v_dual_mov_b32 v24, v56 :: v_dual_mov_b32 v25, v57
	v_dual_mov_b32 v26, v58 :: v_dual_mov_b32 v27, v59
	scratch_load_b128 v[56:59], off, off offset:528 ; 16-byte Folded Reload
	s_waitcnt vmcnt(4)
	v_fma_f64 v[40:41], v[156:157], v[88:89], v[40:41]
	v_fma_f64 v[42:43], v[158:159], v[88:89], v[42:43]
	s_waitcnt vmcnt(3)
	v_fma_f64 v[34:35], v[124:125], v[90:91], v[34:35]
	v_fma_f64 v[142:143], v[156:157], v[106:107], v[142:143]
	;; [unrolled: 1-line block ×5, first 2 shown]
	s_waitcnt vmcnt(2)
	v_fma_f64 v[44:45], v[46:47], v[88:89], v[44:45]
	v_fma_f64 v[54:55], v[48:49], v[88:89], v[172:173]
	;; [unrolled: 1-line block ×3, first 2 shown]
	s_waitcnt vmcnt(1)
	v_fma_f64 v[2:3], v[18:19], v[106:107], v[140:141]
	v_fma_f64 v[140:141], v[46:47], v[106:107], v[72:73]
	v_fma_f64 v[72:73], v[48:49], v[106:107], v[120:121]
	v_fma_f64 v[36:37], v[16:17], v[88:89], v[36:37]
	v_fma_f64 v[38:39], v[18:19], v[88:89], v[38:39]
	v_fma_f64 v[88:89], v[122:123], v[90:91], v[114:115]
	v_fma_f64 v[114:115], v[22:23], v[106:107], v[174:175]
	scratch_load_b128 v[172:175], off, off offset:432 ; 16-byte Folded Reload
	v_fma_f64 v[42:43], v[76:77], v[90:91], v[42:43]
	v_fma_f64 v[142:143], v[74:75], v[108:109], v[142:143]
	;; [unrolled: 1-line block ×18, first 2 shown]
	scratch_store_b64 off, v[2:3], off offset:920 ; 8-byte Folded Spill
	v_fma_f64 v[2:3], v[152:153], v[108:109], v[72:73]
	v_fma_f64 v[120:121], v[28:29], v[108:109], v[90:91]
	;; [unrolled: 1-line block ×6, first 2 shown]
	scratch_store_b64 off, v[2:3], off offset:936 ; 8-byte Folded Spill
	scratch_load_b64 v[2:3], off, off offset:904 ; 8-byte Folded Reload
	v_fma_f64 v[154:155], v[74:75], v[100:101], v[108:109]
	s_waitcnt vmcnt(0)
	v_fma_f64 v[72:73], v[22:23], v[98:99], v[2:3]
	scratch_load_b64 v[2:3], off, off offset:912 ; 8-byte Folded Reload
	v_fma_f64 v[116:117], v[124:125], v[100:101], v[72:73]
	v_fma_f64 v[72:73], v[16:17], v[64:65], v[134:135]
	s_delay_alu instid0(VALU_DEP_1)
	v_fma_f64 v[134:135], v[28:29], v[66:67], v[72:73]
	s_waitcnt vmcnt(0)
	v_fma_f64 v[138:139], v[158:159], v[98:99], v[2:3]
	v_fma_f64 v[2:3], v[122:123], v[100:101], v[106:107]
	scratch_load_b128 v[106:109], off, off offset:736 ; 16-byte Folded Reload
	v_fma_f64 v[138:139], v[76:77], v[100:101], v[138:139]
	scratch_store_b64 off, v[2:3], off offset:640 ; 8-byte Folded Spill
	v_fma_f64 v[2:3], v[28:29], v[100:101], v[90:91]
	scratch_store_b64 off, v[2:3], off offset:904 ; 8-byte Folded Spill
	v_fma_f64 v[2:3], v[30:31], v[100:101], v[96:97]
	v_dual_mov_b32 v96, v144 :: v_dual_mov_b32 v97, v145
	v_dual_mov_b32 v98, v146 :: v_dual_mov_b32 v99, v147
	scratch_load_b128 v[144:147], off, off offset:400 ; 16-byte Folded Reload
	scratch_store_b64 off, v[2:3], off offset:944 ; 8-byte Folded Spill
	v_fma_f64 v[2:3], v[150:151], v[100:101], v[148:149]
	scratch_store_b64 off, v[2:3], off offset:968 ; 8-byte Folded Spill
	v_fma_f64 v[2:3], v[152:153], v[100:101], v[8:9]
	v_fma_f64 v[100:101], v[74:75], v[66:67], v[0:1]
	;; [unrolled: 1-line block ×5, first 2 shown]
	scratch_store_b64 off, v[0:1], off offset:960 ; 8-byte Folded Spill
	v_fma_f64 v[0:1], v[150:151], v[66:67], v[32:33]
	scratch_load_b128 v[148:151], off, off offset:448 ; 16-byte Folded Reload
	v_fma_f64 v[78:79], v[152:153], v[66:67], v[8:9]
	scratch_load_b128 v[8:11], off, off offset:416 ; 16-byte Folded Reload
	scratch_store_b64 off, v[0:1], off offset:976 ; 8-byte Folded Spill
	s_waitcnt vmcnt(3)
	v_fma_f64 v[36:37], v[106:107], v[84:85], v[36:37]
	v_fma_f64 v[38:39], v[108:109], v[84:85], v[38:39]
	v_dual_mov_b32 v159, v109 :: v_dual_mov_b32 v158, v108
	v_dual_mov_b32 v157, v107 :: v_dual_mov_b32 v156, v106
	s_waitcnt vmcnt(2)
	v_fma_f64 v[32:33], v[144:145], v[84:85], v[88:89]
	v_fma_f64 v[34:35], v[146:147], v[84:85], v[34:35]
	s_waitcnt vmcnt(1)
	s_delay_alu instid0(VALU_DEP_2)
	v_fma_f64 v[0:1], v[148:149], v[86:87], v[32:33]
	scratch_store_b64 off, v[2:3], off offset:984 ; 8-byte Folded Spill
	v_fma_f64 v[2:3], v[18:19], v[64:65], v[14:15]
	scratch_load_b128 v[12:15], off, off offset:304 ; 16-byte Folded Reload
	scratch_store_b64 off, v[0:1], off offset:952 ; 8-byte Folded Spill
	v_fma_f64 v[0:1], v[150:151], v[86:87], v[34:35]
	v_fma_f64 v[72:73], v[30:31], v[66:67], v[2:3]
	scratch_load_b128 v[64:67], off, off offset:384 ; 16-byte Folded Reload
	scratch_store_b64 off, v[0:1], off offset:1312 ; 8-byte Folded Spill
	v_fma_f64 v[0:1], v[172:173], v[86:87], v[36:37]
	v_fma_f64 v[36:37], v[144:145], v[80:81], v[110:111]
	scratch_store_b64 off, v[0:1], off offset:1296 ; 8-byte Folded Spill
	v_fma_f64 v[0:1], v[174:175], v[86:87], v[38:39]
	v_fma_f64 v[38:39], v[146:147], v[80:81], v[114:115]
	;; [unrolled: 1-line block ×3, first 2 shown]
	scratch_store_b64 off, v[0:1], off offset:1280 ; 8-byte Folded Spill
	s_waitcnt vmcnt(1)
	v_fma_f64 v[40:41], v[12:13], v[84:85], v[40:41]
	v_fma_f64 v[42:43], v[14:15], v[84:85], v[42:43]
	;; [unrolled: 1-line block ×3, first 2 shown]
	s_delay_alu instid0(VALU_DEP_3)
	v_fma_f64 v[0:1], v[8:9], v[86:87], v[40:41]
	s_waitcnt vmcnt(0)
	v_fma_f64 v[44:45], v[64:65], v[84:85], v[44:45]
	v_fma_f64 v[88:89], v[66:67], v[84:85], v[54:55]
	;; [unrolled: 1-line block ×5, first 2 shown]
	scratch_store_b64 off, v[0:1], off offset:1256 ; 8-byte Folded Spill
	v_fma_f64 v[0:1], v[10:11], v[86:87], v[42:43]
	scratch_store_b64 off, v[0:1], off offset:1136 ; 8-byte Folded Spill
	scratch_load_b128 v[0:3], off, off offset:704 ; 16-byte Folded Reload
	s_waitcnt vmcnt(0)
	v_fma_f64 v[32:33], v[0:1], v[86:87], v[44:45]
	v_fma_f64 v[44:45], v[12:13], v[80:81], v[142:143]
	scratch_store_b64 off, v[32:33], off offset:928 ; 8-byte Folded Spill
	v_fma_f64 v[32:33], v[2:3], v[86:87], v[88:89]
	v_fma_f64 v[88:89], v[14:15], v[80:81], v[136:137]
	scratch_store_b64 off, v[32:33], off offset:912 ; 8-byte Folded Spill
	scratch_load_b64 v[32:33], off, off offset:920 ; 8-byte Folded Reload
	s_waitcnt vmcnt(0)
	v_fma_f64 v[42:43], v[108:109], v[80:81], v[32:33]
	scratch_load_b64 v[32:33], off, off offset:936 ; 8-byte Folded Reload
	scratch_store_b64 off, v[34:35], off offset:936 ; 8-byte Folded Spill
	v_fma_f64 v[34:35], v[150:151], v[82:83], v[38:39]
	v_dual_mov_b32 v109, v95 :: v_dual_mov_b32 v108, v94
	v_dual_mov_b32 v107, v93 :: v_dual_mov_b32 v106, v92
	v_fma_f64 v[92:93], v[62:63], v[4:5], 0
	s_delay_alu instid0(VALU_DEP_2)
	v_fma_f64 v[120:121], v[106:107], v[6:7], v[120:121]
	scratch_store_b64 off, v[34:35], off offset:1304 ; 8-byte Folded Spill
	v_fma_f64 v[34:35], v[172:173], v[82:83], v[40:41]
	v_fma_f64 v[92:93], v[108:109], v[6:7], v[92:93]
	scratch_store_b64 off, v[34:35], off offset:1288 ; 8-byte Folded Spill
	v_fma_f64 v[34:35], v[174:175], v[82:83], v[42:43]
	scratch_store_b64 off, v[34:35], off offset:1272 ; 8-byte Folded Spill
	;; [unrolled: 2-line block ×4, first 2 shown]
	v_fma_f64 v[34:35], v[0:1], v[82:83], v[90:91]
	s_waitcnt vmcnt(0)
	v_fma_f64 v[32:33], v[66:67], v[80:81], v[32:33]
	s_delay_alu instid0(VALU_DEP_1)
	v_fma_f64 v[32:33], v[2:3], v[82:83], v[32:33]
	scratch_store_b64 off, v[34:35], off offset:920 ; 8-byte Folded Spill
	v_fma_f64 v[82:83], v[158:159], v[68:69], v[72:73]
	scratch_store_b64 off, v[32:33], off offset:608 ; 8-byte Folded Spill
	s_clause 0x1
	scratch_load_b128 v[32:35], off, off offset:272
	scratch_load_b64 v[36:37], off, off offset:640
	s_waitcnt vmcnt(1)
	v_fma_f64 v[40:41], v[146:147], v[32:33], v[116:117]
	s_waitcnt vmcnt(0)
	v_fma_f64 v[38:39], v[144:145], v[32:33], v[36:37]
	scratch_load_b64 v[36:37], off, off offset:904 ; 8-byte Folded Reload
	v_fma_f64 v[86:87], v[12:13], v[32:33], v[154:155]
	v_fma_f64 v[88:89], v[14:15], v[32:33], v[138:139]
	;; [unrolled: 1-line block ×3, first 2 shown]
	s_waitcnt vmcnt(0)
	v_fma_f64 v[42:43], v[156:157], v[32:33], v[36:37]
	scratch_load_b64 v[36:37], off, off offset:944 ; 8-byte Folded Reload
	s_waitcnt vmcnt(0)
	v_fma_f64 v[44:45], v[158:159], v[32:33], v[36:37]
	scratch_load_b64 v[36:37], off, off offset:968 ; 8-byte Folded Reload
	;; [unrolled: 3-line block ×3, first 2 shown]
	s_waitcnt vmcnt(0)
	v_fma_f64 v[80:81], v[66:67], v[32:33], v[36:37]
	v_fma_f64 v[32:33], v[148:149], v[34:35], v[38:39]
	scratch_store_b64 off, v[32:33], off offset:944 ; 8-byte Folded Spill
	v_fma_f64 v[32:33], v[150:151], v[34:35], v[40:41]
	v_fma_f64 v[40:41], v[144:145], v[68:69], v[112:113]
	scratch_store_b64 off, v[32:33], off offset:1056 ; 8-byte Folded Spill
	v_fma_f64 v[32:33], v[172:173], v[34:35], v[42:43]
	v_fma_f64 v[36:37], v[148:149], v[70:71], v[40:41]
	scratch_load_b128 v[38:41], off, off offset:752 ; 16-byte Folded Reload
	scratch_store_b64 off, v[32:33], off offset:1040 ; 8-byte Folded Spill
	v_fma_f64 v[32:33], v[174:175], v[34:35], v[44:45]
	v_fma_f64 v[44:45], v[146:147], v[68:69], v[118:119]
	scratch_store_b64 off, v[32:33], off offset:1032 ; 8-byte Folded Spill
	v_fma_f64 v[32:33], v[8:9], v[34:35], v[86:87]
	scratch_load_b128 v[84:87], off, off offset:224 ; 16-byte Folded Reload
	scratch_store_b64 off, v[32:33], off offset:1024 ; 8-byte Folded Spill
	v_fma_f64 v[32:33], v[10:11], v[34:35], v[88:89]
	scratch_store_b64 off, v[32:33], off offset:1008 ; 8-byte Folded Spill
	v_fma_f64 v[32:33], v[0:1], v[34:35], v[90:91]
	scratch_load_b128 v[88:91], off, off offset:320 ; 16-byte Folded Reload
	scratch_store_b64 off, v[32:33], off offset:640 ; 8-byte Folded Spill
	v_fma_f64 v[32:33], v[2:3], v[34:35], v[80:81]
	v_fma_f64 v[80:81], v[156:157], v[68:69], v[134:135]
	scratch_store_b64 off, v[32:33], off offset:272 ; 8-byte Folded Spill
	scratch_load_b64 v[32:33], off, off offset:960 ; 8-byte Folded Reload
	s_waitcnt vmcnt(2)
	v_fma_f64 v[118:119], v[86:87], v[4:5], 0
	s_waitcnt vmcnt(0)
	v_fma_f64 v[112:113], v[14:15], v[68:69], v[32:33]
	scratch_load_b64 v[32:33], off, off offset:976 ; 8-byte Folded Reload
	s_waitcnt vmcnt(0)
	v_fma_f64 v[114:115], v[64:65], v[68:69], v[32:33]
	v_fma_f64 v[32:33], v[150:151], v[70:71], v[44:45]
	scratch_load_b128 v[42:45], off, off offset:112 ; 16-byte Folded Reload
	scratch_store_b64 off, v[32:33], off offset:1016 ; 8-byte Folded Spill
	v_fma_f64 v[32:33], v[172:173], v[70:71], v[80:81]
	scratch_store_b64 off, v[32:33], off offset:1000 ; 8-byte Folded Spill
	v_fma_f64 v[32:33], v[174:175], v[70:71], v[82:83]
	scratch_load_b128 v[80:83], off, off offset:336 ; 16-byte Folded Reload
	scratch_store_b64 off, v[32:33], off offset:992 ; 8-byte Folded Spill
	v_fma_f64 v[32:33], v[8:9], v[70:71], v[110:111]
	scratch_store_b64 off, v[32:33], off offset:984 ; 8-byte Folded Spill
	v_fma_f64 v[32:33], v[10:11], v[70:71], v[112:113]
	v_fma_f64 v[112:113], v[88:89], v[4:5], 0
	scratch_store_b64 off, v[32:33], off offset:976 ; 8-byte Folded Spill
	v_fma_f64 v[32:33], v[0:1], v[70:71], v[114:115]
	v_fma_f64 v[114:115], v[90:91], v[4:5], 0
	scratch_store_b64 off, v[32:33], off offset:904 ; 8-byte Folded Spill
	v_fma_f64 v[32:33], v[2:3], v[70:71], v[116:117]
	v_fma_f64 v[116:117], v[84:85], v[4:5], 0
	scratch_store_b64 off, v[32:33], off offset:624 ; 8-byte Folded Spill
	scratch_load_b128 v[32:35], off, off offset:32 ; 16-byte Folded Reload
	s_waitcnt vmcnt(1)
	v_fma_f64 v[78:79], v[80:81], v[4:5], 0
	v_fma_f64 v[110:111], v[82:83], v[4:5], 0
	s_waitcnt vmcnt(0)
	v_dual_mov_b32 v71, v35 :: v_dual_mov_b32 v70, v34
	v_fma_f64 v[112:113], v[32:33], v[6:7], v[112:113]
	v_fma_f64 v[114:115], v[34:35], v[6:7], v[114:115]
	v_dual_mov_b32 v69, v33 :: v_dual_mov_b32 v68, v32
	scratch_load_b128 v[32:35], off, off    ; 16-byte Folded Reload
	v_fma_f64 v[78:79], v[42:43], v[6:7], v[78:79]
	v_fma_f64 v[110:111], v[44:45], v[6:7], v[110:111]
	s_waitcnt vmcnt(0)
	v_fma_f64 v[116:117], v[32:33], v[6:7], v[116:117]
	v_fma_f64 v[118:119], v[34:35], v[6:7], v[118:119]
	scratch_load_b128 v[4:7], off, off offset:288 ; 16-byte Folded Reload
	v_dual_mov_b32 v155, v35 :: v_dual_mov_b32 v154, v34
	v_dual_mov_b32 v153, v33 :: v_dual_mov_b32 v152, v32
	;; [unrolled: 1-line block ×4, first 2 shown]
	v_fma_f64 v[60:61], v[128:129], v[180:181], v[92:93]
	s_waitcnt vmcnt(0)
	v_fma_f64 v[94:95], v[80:81], v[4:5], 0
	v_fma_f64 v[134:135], v[82:83], v[4:5], 0
	;; [unrolled: 1-line block ×10, first 2 shown]
	s_clause 0x1
	scratch_load_b128 v[134:137], off, off offset:208
	scratch_load_b128 v[42:45], off, off offset:512
	v_fma_f64 v[138:139], v[70:71], v[6:7], v[138:139]
	v_fma_f64 v[140:141], v[152:153], v[6:7], v[140:141]
	;; [unrolled: 1-line block ×15, first 2 shown]
	s_waitcnt vmcnt(1)
	v_fma_f64 v[114:115], v[134:135], v[180:181], v[116:117]
	v_fma_f64 v[116:117], v[136:137], v[180:181], v[118:119]
	;; [unrolled: 1-line block ×3, first 2 shown]
	s_waitcnt vmcnt(0)
	v_fma_f64 v[70:71], v[102:103], v[42:43], v[94:95]
	v_fma_f64 v[94:95], v[104:105], v[42:43], v[54:55]
	;; [unrolled: 1-line block ×3, first 2 shown]
	scratch_load_b128 v[52:55], off, off offset:128 ; 16-byte Folded Reload
	v_fma_f64 v[134:135], v[134:135], v[42:43], v[140:141]
	v_fma_f64 v[136:137], v[136:137], v[42:43], v[142:143]
	;; [unrolled: 1-line block ×4, first 2 shown]
	v_dual_mov_b32 v100, v130 :: v_dual_mov_b32 v101, v131
	v_dual_mov_b32 v102, v132 :: v_dual_mov_b32 v103, v133
	;; [unrolled: 1-line block ×6, first 2 shown]
	v_fma_f64 v[142:143], v[86:87], v[184:185], 0
	v_fma_f64 v[112:113], v[160:161], v[182:183], v[114:115]
	;; [unrolled: 1-line block ×5, first 2 shown]
	v_dual_mov_b32 v180, v188 :: v_dual_mov_b32 v181, v189
	v_dual_mov_b32 v182, v190 :: v_dual_mov_b32 v183, v191
	;; [unrolled: 1-line block ×4, first 2 shown]
	v_fma_f64 v[70:71], v[100:101], v[44:45], v[70:71]
	v_fma_f64 v[72:73], v[102:103], v[44:45], v[94:95]
	;; [unrolled: 1-line block ×3, first 2 shown]
	s_delay_alu instid0(VALU_DEP_4)
	v_fma_f64 v[94:95], v[188:189], v[44:45], v[118:119]
	v_fma_f64 v[118:119], v[190:191], v[44:45], v[120:121]
	;; [unrolled: 1-line block ×5, first 2 shown]
	v_dual_mov_b32 v45, v23 :: v_dual_mov_b32 v44, v22
	v_dual_mov_b32 v43, v21 :: v_dual_mov_b32 v42, v20
	;; [unrolled: 1-line block ×3, first 2 shown]
	s_delay_alu instid0(VALU_DEP_3)
	v_fma_f64 v[62:63], v[44:45], v[56:57], v[78:79]
	v_fma_f64 v[78:79], v[126:127], v[56:57], v[92:93]
	;; [unrolled: 1-line block ×4, first 2 shown]
	scratch_load_b128 v[4:7], off, off offset:368 ; 16-byte Folded Reload
	v_dual_mov_b32 v161, v75 :: v_dual_mov_b32 v160, v74
	v_fma_f64 v[18:19], v[28:29], v[58:59], v[78:79]
	v_fma_f64 v[78:79], v[30:31], v[58:59], v[92:93]
	scratch_load_b128 v[28:31], off, off offset:848 ; 16-byte Folded Reload
	v_fma_f64 v[16:17], v[122:123], v[58:59], v[50:51]
	v_fma_f64 v[50:51], v[80:81], v[184:185], 0
	s_waitcnt vmcnt(2)
	v_dual_mov_b32 v141, v55 :: v_dual_mov_b32 v140, v54
	v_fma_f64 v[110:111], v[52:53], v[56:57], v[112:113]
	v_fma_f64 v[112:113], v[54:55], v[56:57], v[114:115]
	v_dual_mov_b32 v139, v53 :: v_dual_mov_b32 v138, v52
	v_dual_mov_b32 v55, v49 :: v_dual_mov_b32 v54, v48
	;; [unrolled: 1-line block ×3, first 2 shown]
	scratch_load_b128 v[46:49], off, off offset:496 ; 16-byte Folded Reload
	v_fma_f64 v[60:61], v[54:55], v[56:57], v[68:69]
	v_fma_f64 v[68:69], v[124:125], v[58:59], v[62:63]
	;; [unrolled: 1-line block ×5, first 2 shown]
	v_dual_mov_b32 v77, v67 :: v_dual_mov_b32 v76, v66
	v_dual_mov_b32 v75, v65 :: v_dual_mov_b32 v74, v64
	s_waitcnt vmcnt(2)
	v_dual_mov_b32 v179, v7 :: v_dual_mov_b32 v178, v6
	v_fma_f64 v[112:113], v[4:5], v[58:59], v[114:115]
	v_dual_mov_b32 v177, v5 :: v_dual_mov_b32 v176, v4
	v_fma_f64 v[60:61], v[6:7], v[58:59], v[60:61]
	s_waitcnt vmcnt(1)
	v_fma_f64 v[62:63], v[42:43], v[28:29], v[70:71]
	v_fma_f64 v[70:71], v[44:45], v[28:29], v[72:73]
	;; [unrolled: 1-line block ×16, first 2 shown]
	v_dual_mov_b32 v116, v156 :: v_dual_mov_b32 v117, v157
	v_dual_mov_b32 v118, v158 :: v_dual_mov_b32 v119, v159
	v_fma_f64 v[94:95], v[160:161], v[30:31], v[114:115]
	v_fma_f64 v[58:59], v[178:179], v[30:31], v[56:57]
	v_dual_mov_b32 v31, v15 :: v_dual_mov_b32 v30, v14
	v_dual_mov_b32 v29, v13 :: v_dual_mov_b32 v28, v12
	s_waitcnt vmcnt(0)
	v_fma_f64 v[4:5], v[146:147], v[46:47], v[68:69]
	v_fma_f64 v[68:69], v[116:117], v[46:47], v[18:19]
	;; [unrolled: 1-line block ×6, first 2 shown]
	v_dual_mov_b32 v17, v11 :: v_dual_mov_b32 v16, v10
	v_dual_mov_b32 v15, v9 :: v_dual_mov_b32 v14, v8
	v_fma_f64 v[112:113], v[64:65], v[46:47], v[112:113]
	v_fma_f64 v[12:13], v[66:67], v[46:47], v[60:61]
	;; [unrolled: 1-line block ×4, first 2 shown]
	scratch_store_b64 off, v[4:5], off offset:1184 ; 8-byte Folded Spill
	v_fma_f64 v[4:5], v[172:173], v[48:49], v[68:69]
	scratch_store_b64 off, v[4:5], off offset:1168 ; 8-byte Folded Spill
	v_fma_f64 v[4:5], v[174:175], v[48:49], v[20:21]
	v_fma_f64 v[20:21], v[0:1], v[48:49], v[112:113]
	scratch_store_b64 off, v[4:5], off offset:1152 ; 8-byte Folded Spill
	v_fma_f64 v[4:5], v[8:9], v[48:49], v[78:79]
	scratch_store_b64 off, v[20:21], off offset:512 ; 8-byte Folded Spill
	;; [unrolled: 2-line block ×3, first 2 shown]
	v_fma_f64 v[4:5], v[10:11], v[48:49], v[92:93]
	scratch_load_b128 v[8:11], off, off offset:464 ; 16-byte Folded Reload
	scratch_store_b64 off, v[4:5], off offset:1096 ; 8-byte Folded Spill
	v_mov_b32_e32 v5, v3
	v_dual_mov_b32 v4, v2 :: v_dual_mov_b32 v3, v1
	v_mov_b32_e32 v2, v0
	s_waitcnt vmcnt(0)
	v_fma_f64 v[0:1], v[144:145], v[8:9], v[62:63]
	v_fma_f64 v[60:61], v[146:147], v[8:9], v[6:7]
	;; [unrolled: 1-line block ×8, first 2 shown]
	v_dual_mov_b32 v59, v35 :: v_dual_mov_b32 v58, v34
	v_dual_mov_b32 v57, v33 :: v_dual_mov_b32 v56, v32
	v_fma_f64 v[134:135], v[82:83], v[184:185], 0
	v_fma_f64 v[136:137], v[88:89], v[184:185], 0
	s_delay_alu instid0(VALU_DEP_4)
	v_fma_f64 v[156:157], v[58:59], v[184:185], 0
	scratch_load_b128 v[6:9], off, off offset:112 ; 16-byte Folded Reload
	v_fma_f64 v[154:155], v[56:57], v[184:185], 0
	v_fma_f64 v[46:47], v[148:149], v[10:11], v[0:1]
	;; [unrolled: 1-line block ×4, first 2 shown]
	s_delay_alu instid0(VALU_DEP_4)
	v_fma_f64 v[154:155], v[106:107], v[186:187], v[154:155]
	scratch_store_b64 off, v[0:1], off offset:1104 ; 8-byte Folded Spill
	v_fma_f64 v[0:1], v[172:173], v[10:11], v[62:63]
	scratch_store_b64 off, v[0:1], off offset:1088 ; 8-byte Folded Spill
	;; [unrolled: 2-line block ×5, first 2 shown]
	v_fma_f64 v[20:21], v[2:3], v[10:11], v[70:71]
	s_clause 0x1
	scratch_store_b64 off, v[0:1], off offset:1064
	scratch_store_b64 off, v[20:21], off offset:496
	v_fma_f64 v[20:21], v[4:5], v[10:11], v[72:73]
	scratch_load_b128 v[10:13], off, off offset:480 ; 16-byte Folded Reload
	s_waitcnt vmcnt(1)
	v_dual_mov_b32 v95, v9 :: v_dual_mov_b32 v94, v8
	v_dual_mov_b32 v93, v7 :: v_dual_mov_b32 v92, v6
	s_delay_alu instid0(VALU_DEP_2) | instskip(NEXT) | instid1(VALU_DEP_2)
	v_fma_f64 v[134:135], v[94:95], v[186:187], v[134:135]
	v_fma_f64 v[50:51], v[92:93], v[186:187], v[50:51]
	scratch_load_b128 v[92:95], off, off offset:208 ; 16-byte Folded Reload
	s_waitcnt vmcnt(1)
	v_fma_f64 v[60:61], v[80:81], v[10:11], 0
	v_fma_f64 v[62:63], v[82:83], v[10:11], 0
	v_fma_f64 v[64:65], v[88:89], v[10:11], 0
	v_fma_f64 v[66:67], v[90:91], v[10:11], 0
	v_fma_f64 v[68:69], v[84:85], v[10:11], 0
	v_fma_f64 v[70:71], v[86:87], v[10:11], 0
	v_fma_f64 v[72:73], v[56:57], v[10:11], 0
	v_fma_f64 v[48:49], v[58:59], v[10:11], 0
	v_fma_f64 v[60:61], v[6:7], v[12:13], v[60:61]
	v_fma_f64 v[62:63], v[8:9], v[12:13], v[62:63]
	scratch_load_b128 v[6:9], off, off offset:32 ; 16-byte Folded Reload
	v_fma_f64 v[72:73], v[106:107], v[12:13], v[72:73]
	v_fma_f64 v[48:49], v[108:109], v[12:13], v[48:49]
	scratch_load_b128 v[104:107], off, off offset:128 ; 16-byte Folded Reload
	s_waitcnt vmcnt(1)
	v_dual_mov_b32 v113, v9 :: v_dual_mov_b32 v112, v8
	v_fma_f64 v[64:65], v[6:7], v[12:13], v[64:65]
	v_fma_f64 v[66:67], v[8:9], v[12:13], v[66:67]
	v_dual_mov_b32 v111, v7 :: v_dual_mov_b32 v110, v6
	scratch_load_b128 v[6:9], off, off      ; 16-byte Folded Reload
	v_fma_f64 v[138:139], v[112:113], v[186:187], v[138:139]
	scratch_load_b128 v[112:115], off, off offset:240 ; 16-byte Folded Reload
	v_fma_f64 v[136:137], v[110:111], v[186:187], v[136:137]
	scratch_load_b128 v[108:111], off, off offset:1432 ; 16-byte Folded Reload
	s_waitcnt vmcnt(2)
	v_fma_f64 v[68:69], v[6:7], v[12:13], v[68:69]
	v_fma_f64 v[70:71], v[8:9], v[12:13], v[70:71]
	scratch_load_b128 v[10:13], off, off offset:832 ; 16-byte Folded Reload
	v_fma_f64 v[140:141], v[6:7], v[186:187], v[140:141]
	v_fma_f64 v[142:143], v[8:9], v[186:187], v[142:143]
	scratch_load_b128 v[6:9], off, off offset:96 ; 16-byte Folded Reload
	s_waitcnt vmcnt(3)
	v_fma_f64 v[62:63], v[114:115], v[24:25], v[62:63]
	s_waitcnt vmcnt(2)
	v_fma_f64 v[72:73], v[108:109], v[24:25], v[72:73]
	v_fma_f64 v[60:61], v[112:113], v[24:25], v[60:61]
	;; [unrolled: 1-line block ×7, first 2 shown]
	v_dual_mov_b32 v187, v45 :: v_dual_mov_b32 v186, v44
	v_dual_mov_b32 v185, v43 :: v_dual_mov_b32 v184, v42
	v_fma_f64 v[62:63], v[102:103], v[26:27], v[62:63]
	v_fma_f64 v[60:61], v[100:101], v[26:27], v[60:61]
	s_delay_alu instid0(VALU_DEP_2) | instskip(NEXT) | instid1(VALU_DEP_2)
	v_fma_f64 v[62:63], v[44:45], v[168:169], v[62:63]
	v_fma_f64 v[60:61], v[42:43], v[168:169], v[60:61]
	s_delay_alu instid0(VALU_DEP_2) | instskip(NEXT) | instid1(VALU_DEP_2)
	;; [unrolled: 3-line block ×3, first 2 shown]
	v_fma_f64 v[62:63], v[146:147], v[96:97], v[62:63]
	v_fma_f64 v[60:61], v[144:145], v[96:97], v[60:61]
	s_delay_alu instid0(VALU_DEP_2) | instskip(SKIP_3) | instid1(VALU_DEP_2)
	v_fma_f64 v[0:1], v[150:151], v[98:99], v[62:63]
	scratch_store_b64 off, v[20:21], off offset:464 ; 8-byte Folded Spill
	v_dual_mov_b32 v20, v180 :: v_dual_mov_b32 v21, v181
	v_dual_mov_b32 v22, v182 :: v_dual_mov_b32 v23, v183
	v_fma_f64 v[72:73], v[20:21], v[26:27], v[72:73]
	v_fma_f64 v[154:155], v[20:21], v[166:167], v[154:155]
	s_delay_alu instid0(VALU_DEP_3) | instskip(SKIP_4) | instid1(VALU_DEP_2)
	v_fma_f64 v[156:157], v[22:23], v[166:167], v[156:157]
	v_fma_f64 v[48:49], v[22:23], v[26:27], v[48:49]
	scratch_store_b64 off, v[0:1], off offset:1264 ; 8-byte Folded Spill
	v_fma_f64 v[72:73], v[52:53], v[168:169], v[72:73]
	v_fma_f64 v[48:49], v[54:55], v[168:169], v[48:49]
	;; [unrolled: 1-line block ×3, first 2 shown]
	s_delay_alu instid0(VALU_DEP_2) | instskip(NEXT) | instid1(VALU_DEP_2)
	v_fma_f64 v[48:49], v[178:179], v[170:171], v[48:49]
	v_fma_f64 v[72:73], v[74:75], v[96:97], v[72:73]
	s_delay_alu instid0(VALU_DEP_2)
	v_fma_f64 v[48:49], v[76:77], v[96:97], v[48:49]
	s_waitcnt vmcnt(0)
	v_fma_f64 v[64:65], v[6:7], v[24:25], v[64:65]
	v_fma_f64 v[66:67], v[8:9], v[24:25], v[66:67]
	v_dual_mov_b32 v35, v9 :: v_dual_mov_b32 v34, v8
	v_dual_mov_b32 v33, v7 :: v_dual_mov_b32 v32, v6
	;; [unrolled: 1-line block ×4, first 2 shown]
	s_delay_alu instid0(VALU_DEP_4) | instskip(NEXT) | instid1(VALU_DEP_4)
	v_fma_f64 v[138:139], v[34:35], v[164:165], v[138:139]
	v_fma_f64 v[136:137], v[32:33], v[164:165], v[136:137]
	s_delay_alu instid0(VALU_DEP_3)
	v_dual_mov_b32 v115, v9 :: v_dual_mov_b32 v114, v8
	v_dual_mov_b32 v113, v7 :: v_dual_mov_b32 v112, v6
	;; [unrolled: 1-line block ×4, first 2 shown]
	v_fma_f64 v[64:65], v[188:189], v[26:27], v[64:65]
	v_fma_f64 v[66:67], v[190:191], v[26:27], v[66:67]
	scratch_load_b128 v[188:191], off, off offset:16 ; 16-byte Folded Reload
	v_fma_f64 v[70:71], v[94:95], v[24:25], v[70:71]
	v_fma_f64 v[68:69], v[92:93], v[24:25], v[68:69]
	;; [unrolled: 1-line block ×4, first 2 shown]
	v_dual_mov_b32 v92, v100 :: v_dual_mov_b32 v93, v101
	v_dual_mov_b32 v94, v102 :: v_dual_mov_b32 v95, v103
	v_fma_f64 v[138:139], v[114:115], v[166:167], v[138:139]
	v_fma_f64 v[136:137], v[112:113], v[166:167], v[136:137]
	s_delay_alu instid0(VALU_DEP_4)
	v_fma_f64 v[50:51], v[92:93], v[166:167], v[50:51]
	v_dual_mov_b32 v100, v176 :: v_dual_mov_b32 v101, v177
	v_fma_f64 v[134:135], v[94:95], v[166:167], v[134:135]
	v_dual_mov_b32 v102, v178 :: v_dual_mov_b32 v103, v179
	v_fma_f64 v[178:179], v[148:149], v[98:99], v[60:61]
	v_fma_f64 v[64:65], v[126:127], v[168:169], v[64:65]
	;; [unrolled: 1-line block ×7, first 2 shown]
	v_dual_mov_b32 v42, v74 :: v_dual_mov_b32 v43, v75
	v_dual_mov_b32 v44, v76 :: v_dual_mov_b32 v45, v77
	v_fma_f64 v[64:65], v[130:131], v[170:171], v[64:65]
	v_fma_f64 v[66:67], v[132:133], v[170:171], v[66:67]
	;; [unrolled: 1-line block ×7, first 2 shown]
	s_delay_alu instid0(VALU_DEP_4) | instskip(NEXT) | instid1(VALU_DEP_4)
	v_fma_f64 v[50:51], v[144:145], v[38:39], v[50:51]
	v_fma_f64 v[62:63], v[146:147], v[38:39], v[158:159]
	s_waitcnt vmcnt(0)
	v_fma_f64 v[70:71], v[190:191], v[26:27], v[70:71]
	v_dual_mov_b32 v84, v188 :: v_dual_mov_b32 v85, v189
	v_dual_mov_b32 v86, v190 :: v_dual_mov_b32 v87, v191
	v_fma_f64 v[68:69], v[188:189], v[26:27], v[68:69]
	v_dual_mov_b32 v24, v148 :: v_dual_mov_b32 v25, v149
	s_delay_alu instid0(VALU_DEP_4) | instskip(NEXT) | instid1(VALU_DEP_4)
	v_fma_f64 v[140:141], v[84:85], v[166:167], v[140:141]
	v_fma_f64 v[142:143], v[86:87], v[166:167], v[142:143]
	v_dual_mov_b32 v167, v55 :: v_dual_mov_b32 v166, v54
	v_dual_mov_b32 v165, v53 :: v_dual_mov_b32 v164, v52
	;; [unrolled: 1-line block ×3, first 2 shown]
	s_delay_alu instid0(VALU_DEP_3) | instskip(SKIP_1) | instid1(VALU_DEP_4)
	v_fma_f64 v[156:157], v[166:167], v[10:11], v[156:157]
	v_dual_mov_b32 v87, v31 :: v_dual_mov_b32 v86, v30
	v_fma_f64 v[154:155], v[164:165], v[10:11], v[154:155]
	v_dual_mov_b32 v85, v29 :: v_dual_mov_b32 v84, v28
	v_dual_mov_b32 v52, v116 :: v_dual_mov_b32 v53, v117
	;; [unrolled: 1-line block ×3, first 2 shown]
	v_fma_f64 v[70:71], v[106:107], v[168:169], v[70:71]
	v_fma_f64 v[68:69], v[104:105], v[168:169], v[68:69]
	;; [unrolled: 1-line block ×10, first 2 shown]
	v_dual_mov_b32 v141, v9 :: v_dual_mov_b32 v140, v8
	v_fma_f64 v[34:35], v[8:9], v[12:13], v[142:143]
	v_dual_mov_b32 v139, v7 :: v_dual_mov_b32 v138, v6
	v_dual_mov_b32 v8, v172 :: v_dual_mov_b32 v9, v173
	;; [unrolled: 1-line block ×4, first 2 shown]
	s_delay_alu instid0(VALU_DEP_3) | instskip(SKIP_1) | instid1(VALU_DEP_4)
	v_fma_f64 v[174:175], v[8:9], v[98:99], v[64:65]
	v_fma_f64 v[64:65], v[116:117], v[38:39], v[136:137]
	;; [unrolled: 1-line block ×3, first 2 shown]
	v_dual_mov_b32 v171, v3 :: v_dual_mov_b32 v170, v2
	v_fma_f64 v[70:71], v[30:31], v[96:97], v[70:71]
	v_fma_f64 v[68:69], v[28:29], v[96:97], v[68:69]
	v_dual_mov_b32 v31, v11 :: v_dual_mov_b32 v30, v10
	v_dual_mov_b32 v29, v9 :: v_dual_mov_b32 v28, v8
	v_fma_f64 v[66:67], v[118:119], v[38:39], v[160:161]
	v_dual_mov_b32 v10, v14 :: v_dual_mov_b32 v11, v15
	v_dual_mov_b32 v12, v16 :: v_dual_mov_b32 v13, v17
	;; [unrolled: 1-line block ×4, first 2 shown]
	scratch_store_b64 off, v[0:1], off offset:1248 ; 8-byte Folded Spill
	v_fma_f64 v[0:1], v[16:17], v[98:99], v[70:71]
	v_fma_f64 v[70:71], v[86:87], v[38:39], v[34:35]
	;; [unrolled: 1-line block ×4, first 2 shown]
	scratch_load_b128 v[32:35], off, off offset:224 ; 16-byte Folded Reload
	scratch_store_b64 off, v[0:1], off offset:1240 ; 8-byte Folded Spill
	v_fma_f64 v[0:1], v[2:3], v[98:99], v[72:73]
	v_fma_f64 v[72:73], v[42:43], v[38:39], v[154:155]
	;; [unrolled: 1-line block ×4, first 2 shown]
	scratch_store_b64 off, v[0:1], off offset:720 ; 8-byte Folded Spill
	v_fma_f64 v[0:1], v[4:5], v[98:99], v[48:49]
	scratch_store_b64 off, v[0:1], off offset:480 ; 8-byte Folded Spill
	v_fma_f64 v[0:1], v[26:27], v[40:41], v[62:63]
	;; [unrolled: 2-line block ×8, first 2 shown]
	scratch_store_b64 off, v[0:1], off offset:528 ; 8-byte Folded Spill
	s_clause 0x4
	scratch_load_b64 v[0:1], off, off offset:952
	scratch_load_b128 v[4:7], off, off offset:112
	scratch_load_b64 v[8:9], off, off offset:936
	scratch_load_b128 v[180:183], off, off offset:32
	scratch_load_b128 v[134:137], off, off offset:48
	s_waitcnt vmcnt(4)
	v_fma_f64 v[64:65], v[80:81], v[0:1], 0
	v_fma_f64 v[66:67], v[82:83], v[0:1], 0
	;; [unrolled: 1-line block ×8, first 2 shown]
	scratch_load_b128 v[0:3], off, off      ; 16-byte Folded Reload
	v_dual_mov_b32 v59, v35 :: v_dual_mov_b32 v58, v34
	v_dual_mov_b32 v57, v33 :: v_dual_mov_b32 v56, v32
	s_waitcnt vmcnt(3)
	v_fma_f64 v[64:65], v[4:5], v[8:9], v[64:65]
	v_fma_f64 v[66:67], v[6:7], v[8:9], v[66:67]
	s_waitcnt vmcnt(2)
	v_fma_f64 v[68:69], v[180:181], v[8:9], v[68:69]
	v_fma_f64 v[70:71], v[182:183], v[8:9], v[70:71]
	;; [unrolled: 3-line block ×4, first 2 shown]
	s_clause 0x2
	scratch_load_b128 v[14:17], off, off offset:240
	scratch_load_b64 v[8:9], off, off offset:944
	scratch_load_b128 v[188:191], off, off offset:16
	s_waitcnt vmcnt(1)
	v_fma_f64 v[64:65], v[14:15], v[8:9], v[64:65]
	v_fma_f64 v[66:67], v[16:17], v[8:9], v[66:67]
	scratch_load_b128 v[14:17], off, off offset:96 ; 16-byte Folded Reload
	v_fma_f64 v[148:149], v[110:111], v[8:9], v[160:161]
	v_fma_f64 v[158:159], v[108:109], v[8:9], v[158:159]
	;; [unrolled: 1-line block ×4, first 2 shown]
	s_delay_alu instid0(VALU_DEP_4) | instskip(NEXT) | instid1(VALU_DEP_4)
	v_fma_f64 v[148:149], v[22:23], v[36:37], v[148:149]
	v_fma_f64 v[158:159], v[20:21], v[36:37], v[158:159]
	s_delay_alu instid0(VALU_DEP_4) | instskip(NEXT) | instid1(VALU_DEP_4)
	v_fma_f64 v[64:65], v[184:185], v[152:153], v[64:65]
	v_fma_f64 v[66:67], v[186:187], v[152:153], v[66:67]
	s_delay_alu instid0(VALU_DEP_4) | instskip(NEXT) | instid1(VALU_DEP_3)
	v_fma_f64 v[148:149], v[166:167], v[152:153], v[148:149]
	v_fma_f64 v[64:65], v[122:123], v[46:47], v[64:65]
	s_delay_alu instid0(VALU_DEP_3) | instskip(NEXT) | instid1(VALU_DEP_3)
	v_fma_f64 v[66:67], v[124:125], v[46:47], v[66:67]
	v_fma_f64 v[74:75], v[102:103], v[46:47], v[148:149]
	s_delay_alu instid0(VALU_DEP_3) | instskip(NEXT) | instid1(VALU_DEP_3)
	v_fma_f64 v[64:65], v[144:145], v[178:179], v[64:65]
	v_fma_f64 v[66:67], v[146:147], v[178:179], v[66:67]
	s_waitcnt vmcnt(0)
	v_fma_f64 v[68:69], v[14:15], v[8:9], v[68:69]
	v_fma_f64 v[70:71], v[16:17], v[8:9], v[70:71]
	scratch_load_b128 v[14:17], off, off offset:208 ; 16-byte Folded Reload
	v_fma_f64 v[68:69], v[112:113], v[36:37], v[68:69]
	v_fma_f64 v[70:71], v[114:115], v[36:37], v[70:71]
	s_delay_alu instid0(VALU_DEP_2) | instskip(NEXT) | instid1(VALU_DEP_2)
	v_fma_f64 v[68:69], v[126:127], v[152:153], v[68:69]
	v_fma_f64 v[70:71], v[128:129], v[152:153], v[70:71]
	s_delay_alu instid0(VALU_DEP_2) | instskip(NEXT) | instid1(VALU_DEP_2)
	;; [unrolled: 3-line block ×3, first 2 shown]
	v_fma_f64 v[68:69], v[52:53], v[178:179], v[68:69]
	v_fma_f64 v[148:149], v[54:55], v[178:179], v[70:71]
	v_dual_mov_b32 v52, v188 :: v_dual_mov_b32 v53, v189
	v_dual_mov_b32 v54, v190 :: v_dual_mov_b32 v55, v191
	s_waitcnt vmcnt(0)
	v_fma_f64 v[72:73], v[14:15], v[8:9], v[72:73]
	v_fma_f64 v[154:155], v[16:17], v[8:9], v[154:155]
	v_fma_f64 v[8:9], v[24:25], v[156:157], v[64:65]
	s_delay_alu instid0(VALU_DEP_3) | instskip(NEXT) | instid1(VALU_DEP_3)
	v_fma_f64 v[72:73], v[188:189], v[36:37], v[72:73]
	v_fma_f64 v[154:155], v[190:191], v[36:37], v[154:155]
	scratch_store_b64 off, v[8:9], off offset:968 ; 8-byte Folded Spill
	v_fma_f64 v[8:9], v[26:27], v[156:157], v[66:67]
	v_fma_f64 v[72:73], v[104:105], v[152:153], v[72:73]
	;; [unrolled: 1-line block ×4, first 2 shown]
	scratch_store_b64 off, v[8:9], off offset:960 ; 8-byte Folded Spill
	v_fma_f64 v[8:9], v[28:29], v[156:157], v[68:69]
	v_fma_f64 v[158:159], v[44:45], v[178:179], v[74:75]
	v_fma_f64 v[72:73], v[138:139], v[46:47], v[72:73]
	v_fma_f64 v[150:151], v[140:141], v[46:47], v[150:151]
	v_fma_f64 v[152:153], v[100:101], v[46:47], v[154:155]
	scratch_store_b64 off, v[8:9], off offset:952 ; 8-byte Folded Spill
	v_fma_f64 v[8:9], v[30:31], v[156:157], v[148:149]
	v_fma_f64 v[154:155], v[84:85], v[178:179], v[72:73]
	;; [unrolled: 1-line block ×4, first 2 shown]
	scratch_store_b64 off, v[8:9], off offset:944 ; 8-byte Folded Spill
	v_fma_f64 v[8:9], v[10:11], v[156:157], v[154:155]
	scratch_store_b64 off, v[8:9], off offset:936 ; 8-byte Folded Spill
	v_fma_f64 v[8:9], v[12:13], v[156:157], v[150:151]
	scratch_load_b64 v[12:13], off, off offset:1272 ; 8-byte Folded Reload
	scratch_store_b64 off, v[8:9], off offset:848 ; 8-byte Folded Spill
	v_fma_f64 v[8:9], v[170:171], v[156:157], v[152:153]
	scratch_store_b64 off, v[8:9], off offset:832 ; 8-byte Folded Spill
	v_fma_f64 v[8:9], v[172:173], v[156:157], v[158:159]
	scratch_store_b64 off, v[8:9], off offset:752 ; 8-byte Folded Spill
	scratch_load_b64 v[8:9], off, off offset:1312 ; 8-byte Folded Reload
	s_waitcnt vmcnt(0)
	v_fma_f64 v[148:149], v[80:81], v[8:9], 0
	v_fma_f64 v[150:151], v[82:83], v[8:9], 0
	v_fma_f64 v[152:153], v[88:89], v[8:9], 0
	v_fma_f64 v[154:155], v[90:91], v[8:9], 0
	v_fma_f64 v[156:157], v[56:57], v[8:9], 0
	v_fma_f64 v[158:159], v[58:59], v[8:9], 0
	v_fma_f64 v[32:33], v[116:117], v[8:9], 0
	v_fma_f64 v[130:131], v[118:119], v[8:9], 0
	scratch_load_b64 v[8:9], off, off offset:1304 ; 8-byte Folded Reload
	s_waitcnt vmcnt(0)
	v_fma_f64 v[148:149], v[4:5], v[8:9], v[148:149]
	v_fma_f64 v[150:151], v[6:7], v[8:9], v[150:151]
	v_fma_f64 v[152:153], v[180:181], v[8:9], v[152:153]
	v_fma_f64 v[154:155], v[182:183], v[8:9], v[154:155]
	v_fma_f64 v[156:157], v[0:1], v[8:9], v[156:157]
	v_fma_f64 v[158:159], v[2:3], v[8:9], v[158:159]
	v_fma_f64 v[74:75], v[134:135], v[8:9], v[32:33]
	v_fma_f64 v[130:131], v[136:137], v[8:9], v[130:131]
	scratch_load_b64 v[8:9], off, off offset:1296 ; 8-byte Folded Reload
	s_waitcnt vmcnt(0)
	v_fma_f64 v[132:133], v[80:81], v[8:9], 0
	v_fma_f64 v[36:37], v[82:83], v[8:9], 0
	v_fma_f64 v[178:179], v[88:89], v[8:9], 0
	v_fma_f64 v[32:33], v[90:91], v[8:9], 0
	v_fma_f64 v[34:35], v[56:57], v[8:9], 0
	v_fma_f64 v[184:185], v[58:59], v[8:9], 0
	v_fma_f64 v[186:187], v[116:117], v[8:9], 0
	v_fma_f64 v[122:123], v[118:119], v[8:9], 0
	scratch_load_b64 v[8:9], off, off offset:1288 ; 8-byte Folded Reload
	s_waitcnt vmcnt(0)
	v_fma_f64 v[132:133], v[4:5], v[8:9], v[132:133]
	v_fma_f64 v[160:161], v[6:7], v[8:9], v[36:37]
	v_fma_f64 v[178:179], v[180:181], v[8:9], v[178:179]
	v_fma_f64 v[68:69], v[182:183], v[8:9], v[32:33]
	v_fma_f64 v[70:71], v[0:1], v[8:9], v[34:35]
	v_fma_f64 v[184:185], v[2:3], v[8:9], v[184:185]
	v_fma_f64 v[186:187], v[134:135], v[8:9], v[186:187]
	v_fma_f64 v[122:123], v[136:137], v[8:9], v[122:123]
	scratch_load_b64 v[8:9], off, off offset:1280 ; 8-byte Folded Reload
	s_waitcnt vmcnt(0)
	v_fma_f64 v[16:17], v[80:81], v[8:9], 0
	v_fma_f64 v[42:43], v[82:83], v[8:9], 0
	v_fma_f64 v[36:37], v[88:89], v[8:9], 0
	v_fma_f64 v[38:39], v[90:91], v[8:9], 0
	v_fma_f64 v[40:41], v[56:57], v[8:9], 0
	v_fma_f64 v[34:35], v[58:59], v[8:9], 0
	v_fma_f64 v[32:33], v[116:117], v[8:9], 0
	v_fma_f64 v[46:47], v[118:119], v[8:9], 0
	v_fma_f64 v[26:27], v[4:5], v[12:13], v[16:17]
	v_fma_f64 v[72:73], v[6:7], v[12:13], v[42:43]
	v_fma_f64 v[10:11], v[180:181], v[12:13], v[36:37]
	v_fma_f64 v[64:65], v[182:183], v[12:13], v[38:39]
	v_fma_f64 v[66:67], v[0:1], v[12:13], v[40:41]
	v_fma_f64 v[8:9], v[2:3], v[12:13], v[34:35]
	v_fma_f64 v[60:61], v[134:135], v[12:13], v[32:33]
	v_fma_f64 v[62:63], v[136:137], v[12:13], v[46:47]
	scratch_load_b64 v[12:13], off, off offset:1256 ; 8-byte Folded Reload
	s_waitcnt vmcnt(0)
	v_fma_f64 v[16:17], v[80:81], v[12:13], 0
	v_fma_f64 v[42:43], v[82:83], v[12:13], 0
	v_fma_f64 v[40:41], v[88:89], v[12:13], 0
	v_fma_f64 v[38:39], v[90:91], v[12:13], 0
	v_fma_f64 v[36:37], v[56:57], v[12:13], 0
	v_fma_f64 v[34:35], v[58:59], v[12:13], 0
	v_fma_f64 v[32:33], v[116:117], v[12:13], 0
	v_fma_f64 v[124:125], v[118:119], v[12:13], 0
	scratch_load_b64 v[12:13], off, off offset:1208 ; 8-byte Folded Reload
	s_waitcnt vmcnt(0)
	;; [unrolled: 10-line block ×4, first 2 shown]
	v_fma_f64 v[78:79], v[4:5], v[12:13], v[16:17]
	v_fma_f64 v[42:43], v[6:7], v[12:13], v[42:43]
	;; [unrolled: 1-line block ×8, first 2 shown]
	s_clause 0x3
	scratch_load_b128 v[28:31], off, off offset:240
	scratch_load_b64 v[12:13], off, off offset:1056
	scratch_load_b128 v[20:23], off, off offset:96
	scratch_load_b128 v[92:95], off, off offset:208
	s_waitcnt vmcnt(2)
	v_fma_f64 v[18:19], v[28:29], v[12:13], v[148:149]
	v_fma_f64 v[16:17], v[30:31], v[12:13], v[150:151]
	v_dual_mov_b32 v151, v111 :: v_dual_mov_b32 v150, v110
	v_dual_mov_b32 v149, v109 :: v_dual_mov_b32 v148, v108
	s_waitcnt vmcnt(1)
	v_fma_f64 v[140:141], v[20:21], v[12:13], v[152:153]
	v_fma_f64 v[152:153], v[22:23], v[12:13], v[154:155]
	s_waitcnt vmcnt(0)
	v_fma_f64 v[154:155], v[92:93], v[12:13], v[156:157]
	v_fma_f64 v[156:157], v[94:95], v[12:13], v[158:159]
	v_fma_f64 v[158:159], v[148:149], v[12:13], v[74:75]
	v_fma_f64 v[110:111], v[150:151], v[12:13], v[130:131]
	scratch_load_b64 v[12:13], off, off offset:1040 ; 8-byte Folded Reload
	s_waitcnt vmcnt(0)
	v_fma_f64 v[130:131], v[28:29], v[12:13], v[132:133]
	v_fma_f64 v[132:133], v[30:31], v[12:13], v[160:161]
	v_fma_f64 v[74:75], v[20:21], v[12:13], v[178:179]
	v_fma_f64 v[160:161], v[22:23], v[12:13], v[68:69]
	v_fma_f64 v[178:179], v[92:93], v[12:13], v[70:71]
	v_fma_f64 v[68:69], v[94:95], v[12:13], v[184:185]
	v_fma_f64 v[70:71], v[148:149], v[12:13], v[186:187]
	v_fma_f64 v[76:77], v[150:151], v[12:13], v[122:123]
	scratch_load_b64 v[12:13], off, off offset:1032 ; 8-byte Folded Reload
	s_waitcnt vmcnt(0)
	v_fma_f64 v[122:123], v[28:29], v[12:13], v[26:27]
	v_fma_f64 v[120:121], v[30:31], v[12:13], v[72:73]
	v_fma_f64 v[10:11], v[20:21], v[12:13], v[10:11]
	v_fma_f64 v[64:65], v[22:23], v[12:13], v[64:65]
	;; [unrolled: 10-line block ×3, first 2 shown]
	v_fma_f64 v[48:49], v[92:93], v[12:13], v[48:49]
	v_fma_f64 v[46:47], v[94:95], v[12:13], v[46:47]
	;; [unrolled: 1-line block ×4, first 2 shown]
	scratch_load_b64 v[12:13], off, off offset:1008 ; 8-byte Folded Reload
	v_dual_mov_b32 v24, v92 :: v_dual_mov_b32 v25, v93
	v_dual_mov_b32 v26, v94 :: v_dual_mov_b32 v27, v95
	s_waitcnt vmcnt(0)
	v_fma_f64 v[14:15], v[28:29], v[12:13], v[78:79]
	v_fma_f64 v[138:139], v[30:31], v[12:13], v[42:43]
	;; [unrolled: 1-line block ×8, first 2 shown]
	s_clause 0x2
	scratch_load_b128 v[38:41], off, off offset:64
	scratch_load_b64 v[12:13], off, off offset:1016
	scratch_load_b128 v[42:45], off, off offset:672
	s_waitcnt vmcnt(1)
	v_fma_f64 v[100:101], v[38:39], v[12:13], v[18:19]
	v_fma_f64 v[112:113], v[40:41], v[12:13], v[16:17]
	scratch_load_b128 v[16:19], off, off offset:256 ; 16-byte Folded Reload
	v_fma_f64 v[78:79], v[52:53], v[12:13], v[154:155]
	v_fma_f64 v[94:95], v[54:55], v[12:13], v[156:157]
	s_waitcnt vmcnt(1)
	v_fma_f64 v[110:111], v[44:45], v[12:13], v[110:111]
	s_waitcnt vmcnt(0)
	v_fma_f64 v[124:125], v[16:17], v[12:13], v[140:141]
	v_fma_f64 v[140:141], v[18:19], v[12:13], v[152:153]
	v_fma_f64 v[152:153], v[42:43], v[12:13], v[158:159]
	scratch_load_b64 v[12:13], off, off offset:1000 ; 8-byte Folded Reload
	s_waitcnt vmcnt(0)
	v_fma_f64 v[28:29], v[38:39], v[12:13], v[130:131]
	v_fma_f64 v[130:131], v[40:41], v[12:13], v[132:133]
	v_fma_f64 v[132:133], v[16:17], v[12:13], v[74:75]
	v_fma_f64 v[154:155], v[18:19], v[12:13], v[160:161]
	v_fma_f64 v[156:157], v[52:53], v[12:13], v[178:179]
	v_fma_f64 v[158:159], v[54:55], v[12:13], v[68:69]
	v_fma_f64 v[68:69], v[42:43], v[12:13], v[70:71]
	v_fma_f64 v[74:75], v[44:45], v[12:13], v[76:77]
	scratch_load_b64 v[12:13], off, off offset:992 ; 8-byte Folded Reload
	s_waitcnt vmcnt(0)
	v_fma_f64 v[114:115], v[38:39], v[12:13], v[122:123]
	v_fma_f64 v[122:123], v[40:41], v[12:13], v[120:121]
	v_fma_f64 v[10:11], v[16:17], v[12:13], v[10:11]
	v_fma_f64 v[142:143], v[18:19], v[12:13], v[64:65]
	v_fma_f64 v[64:65], v[52:53], v[12:13], v[66:67]
	;; [unrolled: 10-line block ×3, first 2 shown]
	v_fma_f64 v[46:47], v[54:55], v[12:13], v[46:47]
	v_fma_f64 v[178:179], v[42:43], v[12:13], v[84:85]
	;; [unrolled: 1-line block ×3, first 2 shown]
	scratch_load_b64 v[12:13], off, off offset:976 ; 8-byte Folded Reload
	s_waitcnt vmcnt(0)
	v_fma_f64 v[70:71], v[40:41], v[12:13], v[138:139]
	v_fma_f64 v[40:41], v[16:17], v[12:13], v[72:73]
	v_fma_f64 v[32:33], v[42:43], v[12:13], v[32:33]
	v_fma_f64 v[76:77], v[44:45], v[12:13], v[92:93]
	s_clause 0x2
	scratch_load_b128 v[102:105], off, off offset:352
	scratch_load_b64 v[16:17], off, off offset:1184
	scratch_load_b128 v[42:45], off, off offset:128
	v_fma_f64 v[96:97], v[38:39], v[12:13], v[14:15]
	v_fma_f64 v[38:39], v[18:19], v[12:13], v[86:87]
	scratch_load_b64 v[18:19], off, off offset:1152 ; 8-byte Folded Reload
	v_fma_f64 v[36:37], v[52:53], v[12:13], v[36:37]
	v_fma_f64 v[34:35], v[54:55], v[12:13], v[34:35]
	v_dual_mov_b32 v12, v126 :: v_dual_mov_b32 v13, v127
	v_dual_mov_b32 v14, v128 :: v_dual_mov_b32 v15, v129
	s_waitcnt vmcnt(2)
	v_fma_f64 v[72:73], v[102:103], v[16:17], v[100:101]
	v_fma_f64 v[100:101], v[126:127], v[16:17], v[124:125]
	s_waitcnt vmcnt(1)
	v_fma_f64 v[124:125], v[44:45], v[16:17], v[94:95]
	v_dual_mov_b32 v92, v164 :: v_dual_mov_b32 v93, v165
	v_dual_mov_b32 v94, v166 :: v_dual_mov_b32 v95, v167
	v_fma_f64 v[98:99], v[104:105], v[16:17], v[112:113]
	v_fma_f64 v[112:113], v[128:129], v[16:17], v[140:141]
	;; [unrolled: 1-line block ×5, first 2 shown]
	scratch_load_b64 v[16:17], off, off offset:1168 ; 8-byte Folded Reload
	s_waitcnt vmcnt(1)
	v_fma_f64 v[52:53], v[44:45], v[18:19], v[8:9]
	scratch_load_b64 v[8:9], off, off offset:1120 ; 8-byte Folded Reload
	v_fma_f64 v[84:85], v[104:105], v[18:19], v[122:123]
	v_fma_f64 v[122:123], v[128:129], v[18:19], v[142:143]
	;; [unrolled: 1-line block ×5, first 2 shown]
	v_dual_mov_b32 v165, v105 :: v_dual_mov_b32 v164, v104
	v_dual_mov_b32 v163, v103 :: v_dual_mov_b32 v162, v102
	s_waitcnt vmcnt(1)
	v_fma_f64 v[152:153], v[102:103], v[16:17], v[28:29]
	v_fma_f64 v[120:121], v[104:105], v[16:17], v[130:131]
	;; [unrolled: 1-line block ×10, first 2 shown]
	s_waitcnt vmcnt(0)
	v_fma_f64 v[18:19], v[102:103], v[8:9], v[160:161]
	v_fma_f64 v[144:145], v[104:105], v[8:9], v[144:145]
	;; [unrolled: 1-line block ×8, first 2 shown]
	scratch_load_b64 v[8:9], off, off offset:1096 ; 8-byte Folded Reload
	s_waitcnt vmcnt(0)
	v_fma_f64 v[96:97], v[102:103], v[8:9], v[96:97]
	v_fma_f64 v[178:179], v[104:105], v[8:9], v[70:71]
	;; [unrolled: 1-line block ×8, first 2 shown]
	s_clause 0x4
	scratch_load_b128 v[92:95], off, off offset:800
	scratch_load_b64 v[30:31], off, off offset:1104
	scratch_load_b128 v[8:11], off, off offset:784
	scratch_load_b128 v[186:189], off, off offset:768
	;; [unrolled: 1-line block ×3, first 2 shown]
	s_waitcnt vmcnt(4)
	v_dual_mov_b32 v107, v95 :: v_dual_mov_b32 v106, v94
	s_waitcnt vmcnt(3)
	v_fma_f64 v[64:65], v[92:93], v[30:31], v[72:73]
	v_fma_f64 v[98:99], v[94:95], v[30:31], v[98:99]
	s_waitcnt vmcnt(2)
	v_fma_f64 v[100:101], v[8:9], v[30:31], v[100:101]
	v_fma_f64 v[72:73], v[10:11], v[30:31], v[112:113]
	;; [unrolled: 3-line block ×4, first 2 shown]
	scratch_load_b64 v[30:31], off, off offset:1088 ; 8-byte Folded Reload
	v_dual_mov_b32 v105, v93 :: v_dual_mov_b32 v104, v92
	s_waitcnt vmcnt(0)
	v_fma_f64 v[152:153], v[92:93], v[30:31], v[152:153]
	v_fma_f64 v[112:113], v[94:95], v[30:31], v[120:121]
	;; [unrolled: 1-line block ×8, first 2 shown]
	scratch_load_b64 v[30:31], off, off offset:1080 ; 8-byte Folded Reload
	s_waitcnt vmcnt(0)
	v_fma_f64 v[54:55], v[8:9], v[30:31], v[28:29]
	scratch_load_b64 v[28:29], off, off offset:1072 ; 8-byte Folded Reload
	v_fma_f64 v[68:69], v[156:157], v[30:31], v[60:61]
	v_fma_f64 v[132:133], v[158:159], v[30:31], v[62:63]
	v_dual_mov_b32 v60, v156 :: v_dual_mov_b32 v61, v157
	v_fma_f64 v[184:185], v[92:93], v[30:31], v[74:75]
	v_dual_mov_b32 v62, v158 :: v_dual_mov_b32 v63, v159
	v_fma_f64 v[84:85], v[94:95], v[30:31], v[84:85]
	v_fma_f64 v[140:141], v[186:187], v[30:31], v[140:141]
	;; [unrolled: 1-line block ×4, first 2 shown]
	s_waitcnt vmcnt(0)
	v_fma_f64 v[18:19], v[92:93], v[28:29], v[18:19]
	v_fma_f64 v[144:145], v[94:95], v[28:29], v[144:145]
	;; [unrolled: 1-line block ×8, first 2 shown]
	s_clause 0x3
	scratch_load_b64 v[28:29], off, off offset:1064
	scratch_load_b128 v[166:169], off, off offset:400
	scratch_load_b64 v[108:109], off, off offset:1264
	scratch_load_b128 v[126:129], off, off offset:736
	s_waitcnt vmcnt(3)
	v_fma_f64 v[92:93], v[104:105], v[28:29], v[96:97]
	v_fma_f64 v[32:33], v[156:157], v[28:29], v[32:33]
	;; [unrolled: 1-line block ×3, first 2 shown]
	s_waitcnt vmcnt(0)
	v_fma_f64 v[96:97], v[128:129], v[108:109], v[72:73]
	s_clause 0x1
	scratch_load_b128 v[156:159], off, off offset:304
	scratch_load_b128 v[72:75], off, off offset:384
	v_fma_f64 v[178:179], v[106:107], v[28:29], v[178:179]
	v_fma_f64 v[40:41], v[8:9], v[28:29], v[40:41]
	;; [unrolled: 1-line block ×12, first 2 shown]
	s_waitcnt vmcnt(1)
	v_fma_f64 v[98:99], v[156:157], v[108:109], v[154:155]
	v_fma_f64 v[100:101], v[158:159], v[108:109], v[110:111]
	s_waitcnt vmcnt(0)
	v_fma_f64 v[28:29], v[72:73], v[108:109], v[114:115]
	v_fma_f64 v[66:67], v[74:75], v[108:109], v[70:71]
	;; [unrolled: 1-line block ×9, first 2 shown]
	scratch_load_b64 v[174:175], off, off offset:1248 ; 8-byte Folded Reload
	v_fma_f64 v[154:155], v[74:75], v[176:177], v[142:143]
	v_fma_f64 v[48:49], v[156:157], v[176:177], v[48:49]
	;; [unrolled: 1-line block ×3, first 2 shown]
	s_waitcnt vmcnt(0)
	v_fma_f64 v[124:125], v[156:157], v[174:175], v[140:141]
	scratch_load_b64 v[140:141], off, off offset:1240 ; 8-byte Folded Reload
	v_fma_f64 v[138:139], v[72:73], v[174:175], v[68:69]
	v_dual_mov_b32 v68, v126 :: v_dual_mov_b32 v69, v127
	v_fma_f64 v[54:55], v[126:127], v[174:175], v[54:55]
	v_fma_f64 v[122:123], v[128:129], v[174:175], v[122:123]
	;; [unrolled: 1-line block ×5, first 2 shown]
	v_dual_mov_b32 v70, v128 :: v_dual_mov_b32 v71, v129
	v_fma_f64 v[30:31], v[166:167], v[174:175], v[184:185]
	v_fma_f64 v[52:53], v[158:159], v[174:175], v[52:53]
	;; [unrolled: 1-line block ×3, first 2 shown]
	v_dual_mov_b32 v177, v169 :: v_dual_mov_b32 v176, v168
	v_dual_mov_b32 v175, v167 :: v_dual_mov_b32 v174, v166
	s_waitcnt vmcnt(0)
	v_fma_f64 v[40:41], v[126:127], v[140:141], v[40:41]
	v_fma_f64 v[38:39], v[128:129], v[140:141], v[38:39]
	s_clause 0x1
	scratch_load_b128 v[126:129], off, off offset:448
	scratch_load_b64 v[160:161], off, off offset:1232
	v_fma_f64 v[92:93], v[166:167], v[140:141], v[92:93]
	v_fma_f64 v[152:153], v[168:169], v[140:141], v[178:179]
	;; [unrolled: 1-line block ×6, first 2 shown]
	scratch_load_b128 v[140:143], off, off offset:432 ; 16-byte Folded Reload
	s_waitcnt vmcnt(1)
	v_fma_f64 v[28:29], v[170:171], v[160:161], v[28:29]
	v_fma_f64 v[64:65], v[128:129], v[160:161], v[64:65]
	;; [unrolled: 1-line block ×3, first 2 shown]
	scratch_store_b64 off, v[28:29], off offset:984 ; 8-byte Folded Spill
	v_fma_f64 v[28:29], v[172:173], v[160:161], v[66:67]
	s_clause 0x1
	scratch_store_b64 off, v[64:65], off offset:1184
	scratch_store_b64 off, v[28:29], off offset:976
	scratch_load_b64 v[28:29], off, off offset:1224 ; 8-byte Folded Reload
	s_waitcnt vmcnt(1)
	v_fma_f64 v[64:65], v[140:141], v[160:161], v[94:95]
	scratch_store_b64 off, v[64:65], off offset:1136 ; 8-byte Folded Spill
	v_fma_f64 v[64:65], v[142:143], v[160:161], v[96:97]
	scratch_load_b128 v[94:97], off, off offset:416 ; 16-byte Folded Reload
	s_waitcnt vmcnt(1)
	v_fma_f64 v[16:17], v[172:173], v[28:29], v[16:17]
	scratch_store_b64 off, v[64:65], off offset:1088 ; 8-byte Folded Spill
	v_fma_f64 v[66:67], v[128:129], v[28:29], v[108:109]
	scratch_store_b64 off, v[16:17], off offset:992 ; 8-byte Folded Spill
	scratch_load_b64 v[16:17], off, off offset:1216 ; 8-byte Folded Reload
	s_waitcnt vmcnt(1)
	v_fma_f64 v[64:65], v[94:95], v[160:161], v[98:99]
	v_fma_f64 v[98:99], v[126:127], v[28:29], v[102:103]
	v_dual_mov_b32 v169, v97 :: v_dual_mov_b32 v168, v96
	v_dual_mov_b32 v167, v95 :: v_dual_mov_b32 v166, v94
	scratch_store_b64 off, v[64:65], off offset:1048 ; 8-byte Folded Spill
	v_fma_f64 v[64:65], v[96:97], v[160:161], v[100:101]
	s_waitcnt vmcnt(0)
	v_fma_f64 v[100:101], v[126:127], v[16:17], v[30:31]
	v_fma_f64 v[30:31], v[94:95], v[16:17], v[124:125]
	;; [unrolled: 1-line block ×3, first 2 shown]
	scratch_store_b64 off, v[30:31], off offset:1104 ; 8-byte Folded Spill
	v_fma_f64 v[30:31], v[96:97], v[16:17], v[52:53]
	scratch_store_b64 off, v[30:31], off offset:1072 ; 8-byte Folded Spill
	v_fma_f64 v[30:31], v[170:171], v[16:17], v[138:139]
	;; [unrolled: 2-line block ×3, first 2 shown]
	s_clause 0x1
	scratch_store_b64 off, v[30:31], off offset:1008
	scratch_store_b64 off, v[64:65], off offset:1168
	v_fma_f64 v[64:65], v[142:143], v[28:29], v[112:113]
	scratch_store_b64 off, v[64:65], off offset:1120 ; 8-byte Folded Spill
	v_fma_f64 v[64:65], v[94:95], v[28:29], v[114:115]
	v_fma_f64 v[114:115], v[142:143], v[16:17], v[122:123]
	scratch_store_b64 off, v[64:65], off offset:1080 ; 8-byte Folded Spill
	v_fma_f64 v[64:65], v[96:97], v[28:29], v[86:87]
	scratch_store_b64 off, v[64:65], off offset:1024 ; 8-byte Folded Spill
	v_fma_f64 v[64:65], v[170:171], v[28:29], v[120:121]
	v_fma_f64 v[28:29], v[128:129], v[16:17], v[84:85]
	;; [unrolled: 1-line block ×3, first 2 shown]
	s_clause 0x1
	scratch_store_b64 off, v[64:65], off offset:1032
	scratch_store_b64 off, v[16:17], off offset:1040
	scratch_load_b64 v[16:17], off, off offset:1200 ; 8-byte Folded Reload
	s_waitcnt vmcnt(0)
	v_fma_f64 v[30:31], v[94:95], v[16:17], v[48:49]
	v_fma_f64 v[18:19], v[170:171], v[16:17], v[18:19]
	;; [unrolled: 1-line block ×6, first 2 shown]
	scratch_store_b64 off, v[30:31], off offset:1152 ; 8-byte Folded Spill
	v_fma_f64 v[30:31], v[96:97], v[16:17], v[46:47]
	v_fma_f64 v[16:17], v[172:173], v[16:17], v[154:155]
	scratch_store_b64 off, v[30:31], off offset:1096 ; 8-byte Folded Spill
	scratch_load_b64 v[30:31], off, off offset:1192 ; 8-byte Folded Reload
	scratch_store_b64 off, v[16:17], off offset:1016 ; 8-byte Folded Spill
	s_waitcnt vmcnt(0)
	v_fma_f64 v[34:35], v[96:97], v[30:31], v[34:35]
	scratch_load_b64 v[96:97], off, off offset:928 ; 8-byte Folded Reload
	v_fma_f64 v[138:139], v[126:127], v[30:31], v[92:93]
	v_fma_f64 v[46:47], v[128:129], v[30:31], v[152:153]
	;; [unrolled: 1-line block ×7, first 2 shown]
	scratch_store_b64 off, v[18:19], off offset:1056 ; 8-byte Folded Spill
	v_dual_mov_b32 v16, v126 :: v_dual_mov_b32 v17, v127
	v_dual_mov_b32 v18, v128 :: v_dual_mov_b32 v19, v129
	;; [unrolled: 1-line block ×4, first 2 shown]
	scratch_store_b64 off, v[30:31], off offset:1064 ; 8-byte Folded Spill
	s_waitcnt vmcnt(0)
	v_fma_f64 v[76:77], v[80:81], v[96:97], 0
	v_fma_f64 v[50:51], v[82:83], v[96:97], 0
	;; [unrolled: 1-line block ×8, first 2 shown]
	scratch_load_b64 v[96:97], off, off offset:920 ; 8-byte Folded Reload
	s_waitcnt vmcnt(0)
	v_fma_f64 v[76:77], v[4:5], v[96:97], v[76:77]
	v_fma_f64 v[50:51], v[6:7], v[96:97], v[50:51]
	;; [unrolled: 1-line block ×8, first 2 shown]
	scratch_load_b64 v[96:97], off, off offset:912 ; 8-byte Folded Reload
	s_waitcnt vmcnt(0)
	v_fma_f64 v[110:111], v[80:81], v[96:97], 0
	scratch_load_b64 v[80:81], off, off offset:608 ; 8-byte Folded Reload
	v_fma_f64 v[122:123], v[56:57], v[96:97], 0
	v_fma_f64 v[124:125], v[58:59], v[96:97], 0
	;; [unrolled: 1-line block ×7, first 2 shown]
	s_waitcnt vmcnt(0)
	v_fma_f64 v[122:123], v[0:1], v[80:81], v[122:123]
	s_clause 0x1
	scratch_load_b64 v[0:1], off, off offset:640
	scratch_load_b128 v[56:59], off, off offset:240
	v_fma_f64 v[110:111], v[4:5], v[80:81], v[110:111]
	v_fma_f64 v[116:117], v[6:7], v[80:81], v[82:83]
	;; [unrolled: 1-line block ×7, first 2 shown]
	s_waitcnt vmcnt(1)
	v_fma_f64 v[82:83], v[20:21], v[0:1], v[94:95]
	s_waitcnt vmcnt(0)
	v_fma_f64 v[76:77], v[56:57], v[0:1], v[76:77]
	v_fma_f64 v[80:81], v[58:59], v[0:1], v[50:51]
	;; [unrolled: 1-line block ×7, first 2 shown]
	scratch_load_b64 v[0:1], off, off offset:272 ; 8-byte Folded Reload
	v_dual_mov_b32 v51, v27 :: v_dual_mov_b32 v50, v26
	v_dual_mov_b32 v49, v25 :: v_dual_mov_b32 v48, v24
	v_dual_mov_b32 v94, v148 :: v_dual_mov_b32 v95, v149
	v_dual_mov_b32 v96, v150 :: v_dual_mov_b32 v97, v151
	s_waitcnt vmcnt(0)
	v_fma_f64 v[110:111], v[56:57], v[0:1], v[110:111]
	v_fma_f64 v[116:117], v[58:59], v[0:1], v[116:117]
	;; [unrolled: 1-line block ×8, first 2 shown]
	s_clause 0x4
	scratch_load_b64 v[0:1], off, off offset:904
	scratch_load_b128 v[84:87], off, off offset:64
	scratch_load_b128 v[56:59], off, off offset:256
	scratch_load_b128 v[22:25], off, off offset:16
	scratch_load_b128 v[134:137], off, off offset:672
	s_waitcnt vmcnt(3)
	v_fma_f64 v[76:77], v[84:85], v[0:1], v[76:77]
	v_fma_f64 v[80:81], v[86:87], v[0:1], v[80:81]
	s_waitcnt vmcnt(2)
	v_fma_f64 v[82:83], v[56:57], v[0:1], v[82:83]
	v_fma_f64 v[90:91], v[58:59], v[0:1], v[90:91]
	;; [unrolled: 3-line block ×4, first 2 shown]
	scratch_load_b64 v[0:1], off, off offset:624 ; 8-byte Folded Reload
	s_waitcnt vmcnt(0)
	v_fma_f64 v[110:111], v[84:85], v[0:1], v[110:111]
	v_fma_f64 v[116:117], v[86:87], v[0:1], v[116:117]
	;; [unrolled: 1-line block ×6, first 2 shown]
	scratch_load_b128 v[24:27], off, off offset:80 ; 16-byte Folded Reload
	v_fma_f64 v[126:127], v[134:135], v[0:1], v[126:127]
	v_fma_f64 v[130:131], v[136:137], v[0:1], v[130:131]
	scratch_load_b64 v[0:1], off, off offset:512 ; 8-byte Folded Reload
	s_waitcnt vmcnt(0)
	v_fma_f64 v[76:77], v[162:163], v[0:1], v[76:77]
	v_fma_f64 v[80:81], v[164:165], v[0:1], v[80:81]
	;; [unrolled: 1-line block ×8, first 2 shown]
	scratch_load_b64 v[0:1], off, off offset:288 ; 8-byte Folded Reload
	v_dual_mov_b32 v23, v19 :: v_dual_mov_b32 v22, v18
	v_dual_mov_b32 v21, v17 :: v_dual_mov_b32 v20, v16
	s_waitcnt vmcnt(0)
	v_fma_f64 v[110:111], v[162:163], v[0:1], v[110:111]
	v_fma_f64 v[116:117], v[164:165], v[0:1], v[116:117]
	;; [unrolled: 1-line block ×8, first 2 shown]
	scratch_load_b64 v[0:1], off, off offset:496 ; 8-byte Folded Reload
	s_waitcnt vmcnt(0)
	v_fma_f64 v[76:77], v[104:105], v[0:1], v[76:77]
	v_fma_f64 v[80:81], v[106:107], v[0:1], v[80:81]
	;; [unrolled: 1-line block ×8, first 2 shown]
	scratch_load_b64 v[0:1], off, off offset:464 ; 8-byte Folded Reload
	s_waitcnt vmcnt(0)
	v_fma_f64 v[118:119], v[8:9], v[0:1], v[118:119]
	scratch_load_b64 v[8:9], off, off offset:720 ; 8-byte Folded Reload
	v_fma_f64 v[110:111], v[104:105], v[0:1], v[110:111]
	v_fma_f64 v[116:117], v[106:107], v[0:1], v[116:117]
	;; [unrolled: 1-line block ×7, first 2 shown]
	v_dual_mov_b32 v191, v63 :: v_dual_mov_b32 v190, v62
	v_dual_mov_b32 v189, v61 :: v_dual_mov_b32 v188, v60
	s_waitcnt vmcnt(0)
	v_fma_f64 v[76:77], v[174:175], v[8:9], v[76:77]
	v_fma_f64 v[80:81], v[176:177], v[8:9], v[80:81]
	v_fma_f64 v[82:83], v[152:153], v[8:9], v[82:83]
	v_fma_f64 v[90:91], v[154:155], v[8:9], v[90:91]
	v_fma_f64 v[92:93], v[156:157], v[8:9], v[92:93]
	v_fma_f64 v[0:1], v[158:159], v[8:9], v[2:3]
	v_fma_f64 v[2:3], v[72:73], v[8:9], v[16:17]
	v_fma_f64 v[84:85], v[74:75], v[8:9], v[108:109]
	scratch_load_b64 v[8:9], off, off offset:480 ; 8-byte Folded Reload
	s_waitcnt vmcnt(0)
	v_fma_f64 v[108:109], v[174:175], v[8:9], v[110:111]
	v_fma_f64 v[110:111], v[176:177], v[8:9], v[116:117]
	;; [unrolled: 1-line block ×8, first 2 shown]
	scratch_load_b64 v[8:9], off, off offset:816 ; 8-byte Folded Reload
	s_waitcnt vmcnt(0)
	v_fma_f64 v[184:185], v[170:171], v[8:9], v[2:3]
	scratch_load_b64 v[2:3], off, off offset:528 ; 8-byte Folded Reload
	v_fma_f64 v[176:177], v[166:167], v[8:9], v[92:93]
	v_fma_f64 v[178:179], v[168:169], v[8:9], v[0:1]
	;; [unrolled: 1-line block ×7, first 2 shown]
	s_waitcnt vmcnt(0)
	v_fma_f64 v[84:85], v[20:21], v[2:3], v[108:109]
	v_fma_f64 v[92:93], v[22:23], v[2:3], v[110:111]
	;; [unrolled: 1-line block ×8, first 2 shown]
	s_clause 0x3
	scratch_load_b128 v[104:107], off, off offset:1752
	scratch_load_b64 v[2:3], off, off offset:968
	scratch_load_b128 v[86:89], off, off offset:1720
	scratch_load_b128 v[60:63], off, off offset:1704
	s_waitcnt vmcnt(3)
	v_add_f64 v[142:143], v[106:107], v[78:79]
	s_waitcnt vmcnt(2)
	v_add_f64 v[140:141], v[104:105], v[2:3]
	scratch_load_b128 v[104:107], off, off offset:1736 ; 16-byte Folded Reload
	s_waitcnt vmcnt(1)
	v_add_f64 v[4:5], v[60:61], v[76:77]
	v_add_f64 v[6:7], v[62:63], v[84:85]
	;; [unrolled: 1-line block ×4, first 2 shown]
	scratch_store_b128 off, v[4:7], off offset:624 ; 16-byte Folded Spill
	s_clause 0x1
	scratch_load_b128 v[60:63], off, off offset:1816
	scratch_load_b64 v[2:3], off, off offset:960
	s_waitcnt vmcnt(2)
	v_add_f64 v[112:113], v[106:107], v[100:101]
	v_add_f64 v[110:111], v[104:105], v[98:99]
	s_waitcnt vmcnt(0)
	v_add_f64 v[136:137], v[60:61], v[2:3]
	scratch_load_b64 v[2:3], off, off offset:1184 ; 8-byte Folded Reload
	s_waitcnt vmcnt(0)
	v_add_f64 v[138:139], v[62:63], v[2:3]
	scratch_load_b128 v[60:63], off, off offset:1800 ; 16-byte Folded Reload
	s_waitcnt vmcnt(0)
	v_add_f64 v[120:121], v[60:61], v[66:67]
	v_add_f64 v[122:123], v[62:63], v[28:29]
	scratch_load_b128 v[60:63], off, off offset:1784 ; 16-byte Folded Reload
	s_waitcnt vmcnt(0)
	v_add_f64 v[88:89], v[60:61], v[52:53]
	;; [unrolled: 4-line block ×3, first 2 shown]
	v_add_f64 v[6:7], v[62:63], v[92:93]
	scratch_store_b128 off, v[4:7], off offset:608 ; 16-byte Folded Spill
	s_clause 0x1
	scratch_load_b128 v[60:63], off, off offset:1880
	scratch_load_b64 v[2:3], off, off offset:952
	s_waitcnt vmcnt(0)
	v_add_f64 v[132:133], v[60:61], v[2:3]
	scratch_load_b64 v[2:3], off, off offset:1136 ; 8-byte Folded Reload
	s_waitcnt vmcnt(0)
	v_add_f64 v[134:135], v[62:63], v[2:3]
	s_clause 0x1
	scratch_load_b128 v[60:63], off, off offset:1864
	scratch_load_b64 v[2:3], off, off offset:1168
	s_waitcnt vmcnt(1)
	v_add_f64 v[118:119], v[62:63], v[54:55]
	s_waitcnt vmcnt(0)
	v_add_f64 v[116:117], v[60:61], v[2:3]
	scratch_load_b128 v[58:61], off, off offset:1848 ; 16-byte Folded Reload
	s_waitcnt vmcnt(0)
	v_add_f64 v[100:101], v[60:61], v[40:41]
	scratch_load_b128 v[40:43], off, off offset:1832 ; 16-byte Folded Reload
	v_add_f64 v[98:99], v[58:59], v[64:65]
	s_waitcnt vmcnt(0)
	v_add_f64 v[4:5], v[40:41], v[82:83]
	v_add_f64 v[6:7], v[42:43], v[130:131]
	scratch_store_b128 off, v[4:7], off offset:272 ; 16-byte Folded Spill
	s_clause 0x1
	scratch_load_b128 v[40:43], off, off offset:1944
	scratch_load_b64 v[2:3], off, off offset:944
	s_waitcnt vmcnt(0)
	v_add_f64 v[128:129], v[40:41], v[2:3]
	scratch_load_b64 v[2:3], off, off offset:1088 ; 8-byte Folded Reload
	s_waitcnt vmcnt(0)
	v_add_f64 v[130:131], v[42:43], v[2:3]
	s_clause 0x1
	scratch_load_b128 v[40:43], off, off offset:1928
	scratch_load_b64 v[2:3], off, off offset:1120
	s_waitcnt vmcnt(1)
	v_add_f64 v[4:5], v[42:43], v[114:115]
	s_waitcnt vmcnt(0)
	v_add_f64 v[2:3], v[40:41], v[2:3]
	scratch_load_b128 v[40:43], off, off offset:1912 ; 16-byte Folded Reload
	scratch_store_b128 off, v[2:5], off offset:640 ; 16-byte Folded Spill
	s_waitcnt vmcnt(0)
	v_add_f64 v[64:65], v[40:41], v[160:161]
	v_add_f64 v[66:67], v[42:43], v[38:39]
	scratch_load_b128 v[38:41], off, off offset:1896 ; 16-byte Folded Reload
	s_waitcnt vmcnt(0)
	v_add_f64 v[4:5], v[38:39], v[174:175]
	v_add_f64 v[6:7], v[40:41], v[180:181]
	scratch_store_b128 off, v[4:7], off offset:720 ; 16-byte Folded Spill
	s_clause 0x1
	scratch_load_b128 v[38:41], off, off offset:2008
	scratch_load_b64 v[2:3], off, off offset:936
	s_waitcnt vmcnt(0)
	v_add_f64 v[84:85], v[38:39], v[2:3]
	scratch_load_b64 v[2:3], off, off offset:1048 ; 8-byte Folded Reload
	s_waitcnt vmcnt(0)
	v_add_f64 v[86:87], v[40:41], v[2:3]
	s_clause 0x1
	scratch_load_b128 v[38:41], off, off offset:1992
	scratch_load_b64 v[2:3], off, off offset:1080
	s_waitcnt vmcnt(0)
	v_add_f64 v[4:5], v[38:39], v[2:3]
	scratch_load_b64 v[2:3], off, off offset:1104 ; 8-byte Folded Reload
	s_waitcnt vmcnt(0)
	v_add_f64 v[6:7], v[40:41], v[2:3]
	scratch_store_b128 off, v[4:7], off offset:816 ; 16-byte Folded Spill
	s_clause 0x1
	scratch_load_b128 v[38:41], off, off offset:1976
	scratch_load_b64 v[2:3], off, off offset:1152
	s_waitcnt vmcnt(1)
	v_add_f64 v[4:5], v[40:41], v[36:37]
	s_waitcnt vmcnt(0)
	v_add_f64 v[2:3], v[38:39], v[2:3]
	scratch_load_b128 v[36:39], off, off offset:1960 ; 16-byte Folded Reload
	scratch_store_b128 off, v[2:5], off offset:528 ; 16-byte Folded Spill
	s_waitcnt vmcnt(0)
	v_add_f64 v[4:5], v[36:37], v[176:177]
	v_add_f64 v[6:7], v[38:39], v[182:183]
	scratch_store_b128 off, v[4:7], off offset:496 ; 16-byte Folded Spill
	s_clause 0x1
	scratch_load_b128 v[36:39], off, off offset:2072
	scratch_load_b64 v[2:3], off, off offset:848
	s_waitcnt vmcnt(0)
	v_add_f64 v[4:5], v[36:37], v[2:3]
	scratch_load_b64 v[2:3], off, off offset:1000 ; 8-byte Folded Reload
	s_waitcnt vmcnt(0)
	v_add_f64 v[6:7], v[38:39], v[2:3]
	scratch_store_b128 off, v[4:7], off offset:288 ; 16-byte Folded Spill
	s_clause 0x1
	scratch_load_b128 v[36:39], off, off offset:2056
	scratch_load_b64 v[2:3], off, off offset:1024
	s_waitcnt vmcnt(0)
	v_add_f64 v[4:5], v[36:37], v[2:3]
	scratch_load_b64 v[2:3], off, off offset:1072 ; 8-byte Folded Reload
	s_waitcnt vmcnt(0)
	v_add_f64 v[6:7], v[38:39], v[2:3]
	scratch_store_b128 off, v[4:7], off offset:512 ; 16-byte Folded Spill
	s_clause 0x1
	scratch_load_b128 v[36:39], off, off offset:2040
	scratch_load_b64 v[2:3], off, off offset:1096
	s_waitcnt vmcnt(1)
	v_add_f64 v[54:55], v[38:39], v[34:35]
	s_waitcnt vmcnt(0)
	v_add_f64 v[52:53], v[36:37], v[2:3]
	scratch_load_b128 v[34:37], off, off offset:2024 ; 16-byte Folded Reload
	s_waitcnt vmcnt(0)
	v_add_f64 v[4:5], v[34:35], v[178:179]
	v_add_f64 v[6:7], v[36:37], v[186:187]
	scratch_store_b128 off, v[4:7], off offset:464 ; 16-byte Folded Spill
	s_clause 0x1
	scratch_load_b128 v[34:37], off, off offset:2136
	scratch_load_b64 v[2:3], off, off offset:832
	s_waitcnt vmcnt(0)
	v_add_f64 v[4:5], v[34:35], v[2:3]
	scratch_load_b64 v[2:3], off, off offset:984 ; 8-byte Folded Reload
	s_waitcnt vmcnt(0)
	v_add_f64 v[6:7], v[36:37], v[2:3]
	scratch_store_b128 off, v[4:7], off offset:480 ; 16-byte Folded Spill
	s_clause 0x1
	scratch_load_b128 v[34:37], off, off offset:2120
	scratch_load_b64 v[2:3], off, off offset:1032
	s_waitcnt vmcnt(0)
	v_add_f64 v[56:57], v[34:35], v[2:3]
	scratch_load_b64 v[2:3], off, off offset:1008 ; 8-byte Folded Reload
	s_waitcnt vmcnt(0)
	v_add_f64 v[58:59], v[36:37], v[2:3]
	s_clause 0x1
	scratch_load_b128 v[34:37], off, off offset:2104
	scratch_load_b64 v[2:3], off, off offset:1056
	s_waitcnt vmcnt(1)
	v_add_f64 v[178:179], v[36:37], v[32:33]
	s_waitcnt vmcnt(0)
	v_add_f64 v[176:177], v[34:35], v[2:3]
	scratch_load_b128 v[32:35], off, off offset:2088 ; 16-byte Folded Reload
	s_waitcnt vmcnt(0)
	v_add_f64 v[124:125], v[32:33], v[184:185]
	v_add_f64 v[126:127], v[34:35], v[146:147]
	s_clause 0x1
	scratch_load_b128 v[32:35], off, off offset:2200
	scratch_load_b64 v[2:3], off, off offset:752
	s_waitcnt vmcnt(0)
	v_add_f64 v[184:185], v[32:33], v[2:3]
	scratch_load_b64 v[2:3], off, off offset:976 ; 8-byte Folded Reload
	s_waitcnt vmcnt(0)
	v_add_f64 v[186:187], v[34:35], v[2:3]
	s_clause 0x1
	scratch_load_b128 v[32:35], off, off offset:2184
	scratch_load_b64 v[2:3], off, off offset:992
	s_waitcnt vmcnt(0)
	v_add_f64 v[180:181], v[32:33], v[2:3]
	scratch_load_b64 v[2:3], off, off offset:1040 ; 8-byte Folded Reload
	s_waitcnt vmcnt(0)
	;; [unrolled: 8-line block ×3, first 2 shown]
	v_add_f64 v[174:175], v[34:35], v[2:3]
	scratch_load_b128 v[32:35], off, off offset:2152 ; 16-byte Folded Reload
	s_waitcnt vmcnt(0)
	v_add_f64 v[40:41], v[32:33], v[0:1]
	s_clause 0x1
	scratch_load_b64 v[92:93], off, off offset:864
	scratch_load_b64 v[0:1], off, off offset:896
	v_add_f64 v[42:43], v[34:35], v[144:145]
	s_waitcnt vmcnt(0)
	global_store_b64 v[92:93], v[0:1], off
	s_clause 0x4
	scratch_load_b128 v[68:71], off, off offset:144
	scratch_load_b128 v[72:75], off, off offset:160
	;; [unrolled: 1-line block ×4, first 2 shown]
	scratch_load_b64 v[102:103], off, off offset:880
	s_branch .LBB0_43
.LBB0_53:
	s_endpgm
	.section	.rodata,"a",@progbits
	.p2align	6, 0x0
	.amdhsa_kernel _Z6kalmanILi8EEvPKdiS1_S1_S1_S1_S1_bS1_iPdS2_S2_iiS2_bS2_
		.amdhsa_group_segment_fixed_size 0
		.amdhsa_private_segment_fixed_size 2252
		.amdhsa_kernarg_size 392
		.amdhsa_user_sgpr_count 15
		.amdhsa_user_sgpr_dispatch_ptr 0
		.amdhsa_user_sgpr_queue_ptr 0
		.amdhsa_user_sgpr_kernarg_segment_ptr 1
		.amdhsa_user_sgpr_dispatch_id 0
		.amdhsa_user_sgpr_private_segment_size 0
		.amdhsa_wavefront_size32 1
		.amdhsa_uses_dynamic_stack 0
		.amdhsa_enable_private_segment 1
		.amdhsa_system_sgpr_workgroup_id_x 1
		.amdhsa_system_sgpr_workgroup_id_y 0
		.amdhsa_system_sgpr_workgroup_id_z 0
		.amdhsa_system_sgpr_workgroup_info 0
		.amdhsa_system_vgpr_workitem_id 0
		.amdhsa_next_free_vgpr 192
		.amdhsa_next_free_sgpr 32
		.amdhsa_reserve_vcc 1
		.amdhsa_float_round_mode_32 0
		.amdhsa_float_round_mode_16_64 0
		.amdhsa_float_denorm_mode_32 3
		.amdhsa_float_denorm_mode_16_64 3
		.amdhsa_dx10_clamp 1
		.amdhsa_ieee_mode 1
		.amdhsa_fp16_overflow 0
		.amdhsa_workgroup_processor_mode 1
		.amdhsa_memory_ordered 1
		.amdhsa_forward_progress 0
		.amdhsa_shared_vgpr_count 0
		.amdhsa_exception_fp_ieee_invalid_op 0
		.amdhsa_exception_fp_denorm_src 0
		.amdhsa_exception_fp_ieee_div_zero 0
		.amdhsa_exception_fp_ieee_overflow 0
		.amdhsa_exception_fp_ieee_underflow 0
		.amdhsa_exception_fp_ieee_inexact 0
		.amdhsa_exception_int_div_zero 0
	.end_amdhsa_kernel
	.section	.text._Z6kalmanILi8EEvPKdiS1_S1_S1_S1_S1_bS1_iPdS2_S2_iiS2_bS2_,"axG",@progbits,_Z6kalmanILi8EEvPKdiS1_S1_S1_S1_S1_bS1_iPdS2_S2_iiS2_bS2_,comdat
.Lfunc_end0:
	.size	_Z6kalmanILi8EEvPKdiS1_S1_S1_S1_S1_bS1_iPdS2_S2_iiS2_bS2_, .Lfunc_end0-_Z6kalmanILi8EEvPKdiS1_S1_S1_S1_S1_bS1_iPdS2_S2_iiS2_bS2_
                                        ; -- End function
	.section	.AMDGPU.csdata,"",@progbits
; Kernel info:
; codeLenInByte = 41636
; NumSgprs: 34
; NumVgprs: 192
; ScratchSize: 2252
; MemoryBound: 0
; FloatMode: 240
; IeeeMode: 1
; LDSByteSize: 0 bytes/workgroup (compile time only)
; SGPRBlocks: 4
; VGPRBlocks: 23
; NumSGPRsForWavesPerEU: 34
; NumVGPRsForWavesPerEU: 192
; Occupancy: 8
; WaveLimiterHint : 0
; COMPUTE_PGM_RSRC2:SCRATCH_EN: 1
; COMPUTE_PGM_RSRC2:USER_SGPR: 15
; COMPUTE_PGM_RSRC2:TRAP_HANDLER: 0
; COMPUTE_PGM_RSRC2:TGID_X_EN: 1
; COMPUTE_PGM_RSRC2:TGID_Y_EN: 0
; COMPUTE_PGM_RSRC2:TGID_Z_EN: 0
; COMPUTE_PGM_RSRC2:TIDIG_COMP_CNT: 0
	.text
	.p2alignl 7, 3214868480
	.fill 96, 4, 3214868480
	.type	__hip_cuid_cb8810241f84b01,@object ; @__hip_cuid_cb8810241f84b01
	.section	.bss,"aw",@nobits
	.globl	__hip_cuid_cb8810241f84b01
__hip_cuid_cb8810241f84b01:
	.byte	0                               ; 0x0
	.size	__hip_cuid_cb8810241f84b01, 1

	.ident	"AMD clang version 19.0.0git (https://github.com/RadeonOpenCompute/llvm-project roc-6.4.0 25133 c7fe45cf4b819c5991fe208aaa96edf142730f1d)"
	.section	".note.GNU-stack","",@progbits
	.addrsig
	.addrsig_sym __hip_cuid_cb8810241f84b01
	.amdgpu_metadata
---
amdhsa.kernels:
  - .args:
      - .actual_access:  read_only
        .address_space:  global
        .offset:         0
        .size:           8
        .value_kind:     global_buffer
      - .offset:         8
        .size:           4
        .value_kind:     by_value
      - .actual_access:  read_only
        .address_space:  global
        .offset:         16
        .size:           8
        .value_kind:     global_buffer
      - .actual_access:  read_only
        .address_space:  global
        .offset:         24
        .size:           8
        .value_kind:     global_buffer
      - .actual_access:  read_only
        .address_space:  global
        .offset:         32
        .size:           8
        .value_kind:     global_buffer
      - .actual_access:  read_only
        .address_space:  global
        .offset:         40
        .size:           8
        .value_kind:     global_buffer
      - .actual_access:  read_only
        .address_space:  global
        .offset:         48
        .size:           8
        .value_kind:     global_buffer
      - .offset:         56
        .size:           1
        .value_kind:     by_value
      - .actual_access:  read_only
        .address_space:  global
        .offset:         64
        .size:           8
        .value_kind:     global_buffer
      - .offset:         72
        .size:           4
        .value_kind:     by_value
      - .actual_access:  write_only
        .address_space:  global
        .offset:         80
        .size:           8
        .value_kind:     global_buffer
      - .actual_access:  write_only
        .address_space:  global
        .offset:         88
        .size:           8
        .value_kind:     global_buffer
      - .actual_access:  write_only
        .address_space:  global
        .offset:         96
        .size:           8
        .value_kind:     global_buffer
      - .offset:         104
        .size:           4
        .value_kind:     by_value
      - .offset:         108
        .size:           4
        .value_kind:     by_value
      - .actual_access:  write_only
        .address_space:  global
        .offset:         112
        .size:           8
        .value_kind:     global_buffer
      - .offset:         120
        .size:           1
        .value_kind:     by_value
      - .address_space:  global
        .offset:         128
        .size:           8
        .value_kind:     global_buffer
      - .offset:         136
        .size:           4
        .value_kind:     hidden_block_count_x
      - .offset:         140
        .size:           4
        .value_kind:     hidden_block_count_y
      - .offset:         144
        .size:           4
        .value_kind:     hidden_block_count_z
      - .offset:         148
        .size:           2
        .value_kind:     hidden_group_size_x
      - .offset:         150
        .size:           2
        .value_kind:     hidden_group_size_y
      - .offset:         152
        .size:           2
        .value_kind:     hidden_group_size_z
      - .offset:         154
        .size:           2
        .value_kind:     hidden_remainder_x
      - .offset:         156
        .size:           2
        .value_kind:     hidden_remainder_y
      - .offset:         158
        .size:           2
        .value_kind:     hidden_remainder_z
      - .offset:         176
        .size:           8
        .value_kind:     hidden_global_offset_x
      - .offset:         184
        .size:           8
        .value_kind:     hidden_global_offset_y
      - .offset:         192
        .size:           8
        .value_kind:     hidden_global_offset_z
      - .offset:         200
        .size:           2
        .value_kind:     hidden_grid_dims
    .group_segment_fixed_size: 0
    .kernarg_segment_align: 8
    .kernarg_segment_size: 392
    .language:       OpenCL C
    .language_version:
      - 2
      - 0
    .max_flat_workgroup_size: 1024
    .name:           _Z6kalmanILi8EEvPKdiS1_S1_S1_S1_S1_bS1_iPdS2_S2_iiS2_bS2_
    .private_segment_fixed_size: 2252
    .sgpr_count:     34
    .sgpr_spill_count: 0
    .symbol:         _Z6kalmanILi8EEvPKdiS1_S1_S1_S1_S1_bS1_iPdS2_S2_iiS2_bS2_.kd
    .uniform_work_group_size: 1
    .uses_dynamic_stack: false
    .vgpr_count:     192
    .vgpr_spill_count: 1316
    .wavefront_size: 32
    .workgroup_processor_mode: 1
amdhsa.target:   amdgcn-amd-amdhsa--gfx1100
amdhsa.version:
  - 1
  - 2
...

	.end_amdgpu_metadata
